;; amdgpu-corpus repo=ROCm/rocFFT kind=compiled arch=gfx950 opt=O3
	.text
	.amdgcn_target "amdgcn-amd-amdhsa--gfx950"
	.amdhsa_code_object_version 6
	.protected	bluestein_single_back_len1768_dim1_dp_op_CI_CI ; -- Begin function bluestein_single_back_len1768_dim1_dp_op_CI_CI
	.globl	bluestein_single_back_len1768_dim1_dp_op_CI_CI
	.p2align	8
	.type	bluestein_single_back_len1768_dim1_dp_op_CI_CI,@function
bluestein_single_back_len1768_dim1_dp_op_CI_CI: ; @bluestein_single_back_len1768_dim1_dp_op_CI_CI
; %bb.0:
	s_load_dwordx4 s[8:11], s[0:1], 0x28
	v_mul_u32_u24_e32 v1, 0x1e2, v0
	v_add_u32_sdwa v204, s2, v1 dst_sel:DWORD dst_unused:UNUSED_PAD src0_sel:DWORD src1_sel:WORD_1
	v_mov_b32_e32 v205, 0
	s_waitcnt lgkmcnt(0)
	v_cmp_gt_u64_e32 vcc, s[8:9], v[204:205]
	s_and_saveexec_b64 s[2:3], vcc
	s_cbranch_execz .LBB0_23
; %bb.1:
	s_load_dwordx2 s[8:9], s[0:1], 0x0
	s_load_dwordx2 s[12:13], s[0:1], 0x38
	s_movk_i32 s2, 0x88
	v_mul_lo_u16_sdwa v1, v1, s2 dst_sel:DWORD dst_unused:UNUSED_PAD src0_sel:WORD_1 src1_sel:DWORD
	v_sub_u16_e32 v202, v0, v1
	s_movk_i32 s2, 0x68
	v_cmp_gt_u16_e32 vcc, s2, v202
	v_lshlrev_b32_e32 v220, 4, v202
	s_and_saveexec_b64 s[14:15], vcc
	s_cbranch_execz .LBB0_3
; %bb.2:
	s_load_dwordx2 s[2:3], s[0:1], 0x18
	v_mov_b32_e32 v221, 0
	s_waitcnt lgkmcnt(0)
	v_lshl_add_u64 v[134:135], s[8:9], 0, v[220:221]
	v_mov_b32_e32 v0, s10
	v_mov_b32_e32 v1, s11
	s_load_dwordx4 s[4:7], s[2:3], 0x0
	s_movk_i32 s10, 0x4000
	v_mov_b32_e32 v20, 0x680
	v_or_b32_e32 v139, 0x680, v202
	v_lshlrev_b32_e32 v21, 4, v139
	s_waitcnt lgkmcnt(0)
	v_mad_u64_u32 v[2:3], s[2:3], s6, v204, 0
	v_mad_u64_u32 v[4:5], s[2:3], s4, v202, 0
	v_mov_b32_e32 v6, v3
	v_mov_b32_e32 v8, v5
	v_mad_u64_u32 v[6:7], s[2:3], s7, v204, v[6:7]
	v_mov_b32_e32 v3, v6
	v_mad_u64_u32 v[6:7], s[2:3], s5, v202, v[8:9]
	s_movk_i32 s2, 0x1000
	s_nop 0
	v_add_co_u32_e64 v50, s[2:3], s2, v134
	s_movk_i32 s6, 0x2000
	s_nop 0
	v_addc_co_u32_e64 v51, s[2:3], 0, v135, s[2:3]
	v_add_co_u32_e64 v52, s[2:3], s6, v134
	s_movk_i32 s7, 0x3000
	s_nop 0
	v_addc_co_u32_e64 v53, s[2:3], 0, v135, s[2:3]
	v_add_co_u32_e64 v98, s[2:3], s7, v134
	v_mov_b32_e32 v5, v6
	v_lshl_add_u64 v[16:17], v[2:3], 4, v[0:1]
	v_addc_co_u32_e64 v99, s[2:3], 0, v135, s[2:3]
	v_lshl_add_u64 v[18:19], v[4:5], 4, v[16:17]
	v_add_co_u32_e64 v114, s[2:3], s10, v134
	global_load_dwordx4 v[0:3], v220, s[8:9]
	global_load_dwordx4 v[4:7], v[18:19], off
	v_addc_co_u32_e64 v115, s[2:3], 0, v135, s[2:3]
	s_mul_i32 s6, s5, 0x680
	v_mad_u64_u32 v[18:19], s[2:3], s4, v20, v[18:19]
	v_add_u32_e32 v19, s6, v19
	v_mad_u64_u32 v[58:59], s[2:3], s4, v20, v[18:19]
	v_add_u32_e32 v59, s6, v59
	global_load_dwordx4 v[8:11], v220, s[8:9] offset:1664
	global_load_dwordx4 v[12:15], v220, s[8:9] offset:3328
	global_load_dwordx4 v[22:25], v21, s[8:9]
	global_load_dwordx4 v[26:29], v[50:51], off offset:896
	global_load_dwordx4 v[30:33], v[50:51], off offset:2560
	;; [unrolled: 1-line block ×6, first 2 shown]
	s_nop 0
	global_load_dwordx4 v[50:53], v[18:19], off
	global_load_dwordx4 v[54:57], v[58:59], off
	v_mad_u64_u32 v[18:19], s[2:3], s4, v20, v[58:59]
	v_add_u32_e32 v19, s6, v19
	v_mad_u64_u32 v[66:67], s[2:3], s4, v20, v[18:19]
	v_add_u32_e32 v67, s6, v67
	global_load_dwordx4 v[58:61], v[18:19], off
	global_load_dwordx4 v[62:65], v[66:67], off
	v_mad_u64_u32 v[18:19], s[2:3], s4, v20, v[66:67]
	v_add_u32_e32 v19, s6, v19
	global_load_dwordx4 v[66:69], v[18:19], off
	v_mad_u64_u32 v[18:19], s[2:3], s4, v20, v[18:19]
	v_add_u32_e32 v19, s6, v19
	;; [unrolled: 3-line block ×5, first 2 shown]
	v_mad_u64_u32 v[100:101], s[2:3], s4, v20, v[18:19]
	v_add_u32_e32 v101, s6, v101
	v_mad_u64_u32 v[102:103], s[2:3], s4, v20, v[100:101]
	v_add_u32_e32 v103, s6, v103
	;; [unrolled: 2-line block ×3, first 2 shown]
	global_load_dwordx4 v[82:85], v[18:19], off
	v_mad_u64_u32 v[118:119], s[2:3], s4, v20, v[116:117]
	global_load_dwordx4 v[86:89], v[100:101], off
	global_load_dwordx4 v[90:93], v[98:99], off offset:2688
	global_load_dwordx4 v[94:97], v[114:115], off offset:256
	s_movk_i32 s2, 0x5000
	v_add_u32_e32 v119, s6, v119
	v_add_co_u32_e64 v126, s[2:3], s2, v134
	global_load_dwordx4 v[98:101], v[102:103], off
	s_nop 0
	v_addc_co_u32_e64 v127, s[2:3], 0, v135, s[2:3]
	v_mad_u64_u32 v[130:131], s[2:3], s4, v20, v[118:119]
	v_add_u32_e32 v131, s6, v131
	global_load_dwordx4 v[102:105], v[116:117], off
	global_load_dwordx4 v[106:109], v[114:115], off offset:1920
	global_load_dwordx4 v[110:113], v[114:115], off offset:3584
	v_mad_u64_u32 v[20:21], s[2:3], s4, v20, v[130:131]
	v_add_u32_e32 v21, s6, v21
	s_movk_i32 s2, 0x6000
	global_load_dwordx4 v[114:117], v[118:119], off
	s_nop 0
	global_load_dwordx4 v[118:121], v[130:131], off
	global_load_dwordx4 v[122:125], v[126:127], off offset:1152
	s_nop 0
	global_load_dwordx4 v[126:129], v[126:127], off offset:2816
	s_waitcnt vmcnt(29)
	v_mul_f64 v[18:19], v[6:7], v[2:3]
	global_load_dwordx4 v[130:133], v[20:21], off
	v_add_co_u32_e64 v20, s[2:3], s2, v134
	v_mul_f64 v[2:3], v[4:5], v[2:3]
	s_nop 0
	v_addc_co_u32_e64 v21, s[2:3], 0, v135, s[2:3]
	global_load_dwordx4 v[134:137], v[20:21], off offset:384
	v_mad_u64_u32 v[20:21], s[2:3], s4, v139, 0
	v_mov_b32_e32 v138, v21
	v_mad_u64_u32 v[138:139], s[2:3], s5, v139, v[138:139]
	v_mov_b32_e32 v21, v138
	v_lshl_add_u64 v[16:17], v[20:21], 4, v[16:17]
	global_load_dwordx4 v[138:141], v[16:17], off
	v_fmac_f64_e32 v[18:19], v[4:5], v[0:1]
	v_fma_f64 v[20:21], v[6:7], v[0:1], -v[2:3]
	s_waitcnt vmcnt(22)
	v_mul_f64 v[0:1], v[52:53], v[10:11]
	v_mul_f64 v[2:3], v[50:51], v[10:11]
	v_fmac_f64_e32 v[0:1], v[50:51], v[8:9]
	v_fma_f64 v[2:3], v[52:53], v[8:9], -v[2:3]
	ds_write_b128 v220, v[0:3] offset:1664
	s_waitcnt vmcnt(21)
	v_mul_f64 v[0:1], v[56:57], v[14:15]
	v_mul_f64 v[2:3], v[54:55], v[14:15]
	v_fmac_f64_e32 v[0:1], v[54:55], v[12:13]
	v_fma_f64 v[2:3], v[56:57], v[12:13], -v[2:3]
	ds_write_b128 v220, v[0:3] offset:3328
	;; [unrolled: 6-line block ×15, first 2 shown]
	ds_write_b128 v220, v[18:21]
	s_waitcnt vmcnt(0)
	v_mul_f64 v[0:1], v[140:141], v[24:25]
	v_mul_f64 v[2:3], v[138:139], v[24:25]
	v_fmac_f64_e32 v[0:1], v[138:139], v[22:23]
	v_fma_f64 v[2:3], v[140:141], v[22:23], -v[2:3]
	ds_write_b128 v220, v[0:3] offset:26624
.LBB0_3:
	s_or_b64 exec, exec, s[14:15]
	s_load_dwordx2 s[4:5], s[0:1], 0x20
	s_load_dwordx2 s[2:3], s[0:1], 0x8
	s_waitcnt lgkmcnt(0)
	s_barrier
	s_waitcnt lgkmcnt(0)
                                        ; implicit-def: $vgpr4_vgpr5
                                        ; implicit-def: $vgpr8_vgpr9
                                        ; implicit-def: $vgpr16_vgpr17
                                        ; implicit-def: $vgpr28_vgpr29
                                        ; implicit-def: $vgpr36_vgpr37
                                        ; implicit-def: $vgpr40_vgpr41
                                        ; implicit-def: $vgpr56_vgpr57
                                        ; implicit-def: $vgpr64_vgpr65
                                        ; implicit-def: $vgpr68_vgpr69
                                        ; implicit-def: $vgpr60_vgpr61
                                        ; implicit-def: $vgpr52_vgpr53
                                        ; implicit-def: $vgpr48_vgpr49
                                        ; implicit-def: $vgpr44_vgpr45
                                        ; implicit-def: $vgpr32_vgpr33
                                        ; implicit-def: $vgpr24_vgpr25
                                        ; implicit-def: $vgpr20_vgpr21
                                        ; implicit-def: $vgpr12_vgpr13
	s_and_saveexec_b64 s[0:1], vcc
	s_cbranch_execz .LBB0_5
; %bb.4:
	ds_read_b128 v[4:7], v220
	ds_read_b128 v[12:15], v220 offset:1664
	ds_read_b128 v[8:11], v220 offset:3328
	;; [unrolled: 1-line block ×16, first 2 shown]
.LBB0_5:
	s_or_b64 exec, exec, s[0:1]
	s_mov_b32 s20, 0x5d8e7cdc
	s_waitcnt lgkmcnt(0)
	v_add_f64 v[96:97], v[14:15], -v[70:71]
	s_mov_b32 s0, 0x370991
	s_mov_b32 s21, 0xbfd71e95
	;; [unrolled: 1-line block ×3, first 2 shown]
	v_add_f64 v[136:137], v[68:69], v[12:13]
	v_add_f64 v[100:101], v[12:13], -v[68:69]
	s_mov_b32 s1, 0x3fedd6d0
	v_mul_f64 v[82:83], v[96:97], s[20:21]
	s_mov_b32 s10, 0x75d4884
	s_mov_b32 s31, 0xbfe58eea
	v_add_f64 v[98:99], v[10:11], -v[66:67]
	v_add_f64 v[138:139], v[70:71], v[14:15]
	v_mul_f64 v[84:85], v[100:101], s[20:21]
	v_fma_f64 v[0:1], s[0:1], v[136:137], v[82:83]
	s_mov_b32 s11, 0x3fe7a5f6
	s_mov_b32 s26, 0x7c9e640b
	v_add_f64 v[144:145], v[8:9], v[64:65]
	v_add_f64 v[102:103], v[8:9], -v[64:65]
	v_mul_f64 v[86:87], v[98:99], s[30:31]
	v_add_f64 v[0:1], v[4:5], v[0:1]
	v_fma_f64 v[2:3], v[138:139], s[0:1], -v[84:85]
	s_mov_b32 s6, 0x2b2883cd
	s_mov_b32 s27, 0xbfeca52d
	v_add_f64 v[146:147], v[10:11], v[66:67]
	v_mul_f64 v[88:89], v[102:103], s[30:31]
	v_fma_f64 v[72:73], s[10:11], v[144:145], v[86:87]
	v_add_f64 v[106:107], v[22:23], -v[62:63]
	v_add_f64 v[2:3], v[6:7], v[2:3]
	s_mov_b32 s7, 0x3fdc86fa
	s_mov_b32 s34, 0xeb564b22
	v_add_f64 v[0:1], v[72:73], v[0:1]
	v_fma_f64 v[72:73], v[146:147], s[10:11], -v[88:89]
	v_add_f64 v[150:151], v[60:61], v[20:21]
	v_add_f64 v[104:105], v[20:21], -v[60:61]
	v_mul_f64 v[90:91], v[106:107], s[26:27]
	s_mov_b32 s14, 0x3259b75e
	s_mov_b32 s35, 0xbfefdd0d
	v_add_f64 v[2:3], v[72:73], v[2:3]
	v_add_f64 v[152:153], v[62:63], v[22:23]
	v_mul_f64 v[92:93], v[104:105], s[26:27]
	v_fma_f64 v[72:73], s[6:7], v[150:151], v[90:91]
	v_add_f64 v[218:219], v[26:27], -v[58:59]
	s_mov_b32 s15, 0x3fb79ee6
	v_add_f64 v[0:1], v[72:73], v[0:1]
	v_fma_f64 v[72:73], v[152:153], s[6:7], -v[92:93]
	s_mov_b32 s40, 0x923c349f
	v_add_f64 v[158:159], v[56:57], v[24:25]
	v_add_f64 v[216:217], v[24:25], -v[56:57]
	v_mul_f64 v[94:95], v[218:219], s[34:35]
	v_add_f64 v[2:3], v[72:73], v[2:3]
	s_mov_b32 s16, 0xc61f0d01
	s_mov_b32 s41, 0x3feec746
	v_add_f64 v[160:161], v[58:59], v[26:27]
	v_mul_f64 v[186:187], v[216:217], s[34:35]
	v_fma_f64 v[72:73], s[14:15], v[158:159], v[94:95]
	v_add_f64 v[226:227], v[18:19], -v[54:55]
	s_mov_b32 s37, 0xbfeec746
	s_mov_b32 s36, s40
	;; [unrolled: 1-line block ×3, first 2 shown]
	v_add_f64 v[0:1], v[72:73], v[0:1]
	v_fma_f64 v[72:73], v[160:161], s[14:15], -v[186:187]
	v_add_f64 v[162:163], v[16:17], v[52:53]
	v_mul_f64 v[188:189], v[226:227], s[36:37]
	v_add_f64 v[222:223], v[16:17], -v[52:53]
	s_mov_b32 s38, 0x6c9a05f6
	v_add_f64 v[2:3], v[72:73], v[2:3]
	v_fma_f64 v[72:73], s[16:17], v[162:163], v[188:189]
	v_add_f64 v[166:167], v[18:19], v[54:55]
	v_mul_f64 v[192:193], v[222:223], s[36:37]
	s_mov_b32 s18, 0x6ed5f1bb
	s_mov_b32 s39, 0xbfe9895b
	v_add_f64 v[240:241], v[34:35], -v[50:51]
	v_add_f64 v[0:1], v[72:73], v[0:1]
	v_fma_f64 v[72:73], v[166:167], s[16:17], -v[192:193]
	s_mov_b32 s19, 0xbfe348c8
	v_add_f64 v[170:171], v[48:49], v[32:33]
	v_mul_f64 v[194:195], v[240:241], s[38:39]
	v_add_f64 v[234:235], v[32:33], -v[48:49]
	s_mov_b32 s42, 0x4363dd80
	v_add_f64 v[2:3], v[72:73], v[2:3]
	v_fma_f64 v[72:73], s[18:19], v[170:171], v[194:195]
	v_add_f64 v[172:173], v[50:51], v[34:35]
	v_mul_f64 v[198:199], v[234:235], s[38:39]
	s_mov_b32 s24, 0x910ea3b9
	s_mov_b32 s43, 0x3fe0d888
	s_mov_b32 s47, 0xbfe0d888
	s_mov_b32 s46, s42
	v_add_f64 v[254:255], v[30:31], -v[42:43]
	v_add_f64 v[0:1], v[72:73], v[0:1]
	v_fma_f64 v[72:73], v[172:173], s[18:19], -v[198:199]
	s_mov_b32 s25, 0xbfeb34fa
	v_add_f64 v[176:177], v[28:29], v[40:41]
	v_mul_f64 v[200:201], v[254:255], s[46:47]
	v_add_f64 v[250:251], v[28:29], -v[40:41]
	s_mov_b32 s44, 0xacd6c6b4
	v_add_f64 v[2:3], v[72:73], v[2:3]
	v_fma_f64 v[72:73], s[24:25], v[176:177], v[200:201]
	v_add_f64 v[182:183], v[30:31], v[42:43]
	v_mul_f64 v[210:211], v[250:251], s[46:47]
	s_mov_b32 s28, 0x7faef3
	s_mov_b32 s45, 0xbfc7851a
	v_add_f64 v[130:131], v[38:39], -v[46:47]
	v_add_f64 v[0:1], v[72:73], v[0:1]
	v_fma_f64 v[72:73], v[182:183], s[24:25], -v[210:211]
	s_mov_b32 s29, 0xbfef7484
	v_add_f64 v[190:191], v[36:37], v[44:45]
	v_mul_f64 v[212:213], v[130:131], s[44:45]
	v_add_f64 v[128:129], v[36:37], -v[44:45]
	v_add_f64 v[2:3], v[72:73], v[2:3]
	v_fma_f64 v[72:73], s[28:29], v[190:191], v[212:213]
	v_add_f64 v[196:197], v[38:39], v[46:47]
	v_mul_f64 v[214:215], v[128:129], s[44:45]
	v_add_f64 v[206:207], v[72:73], v[0:1]
	v_fma_f64 v[0:1], v[196:197], s[28:29], -v[214:215]
	v_add_f64 v[208:209], v[0:1], v[2:3]
	v_mul_f64 v[0:1], v[96:97], s[30:31]
	v_accvgpr_write_b32 a7, v1
	v_mul_f64 v[2:3], v[98:99], s[34:35]
	v_accvgpr_write_b32 a6, v0
	v_fma_f64 v[0:1], s[10:11], v[136:137], v[0:1]
	v_accvgpr_write_b32 a9, v3
	v_add_f64 v[0:1], v[4:5], v[0:1]
	v_accvgpr_write_b32 a8, v2
	v_fma_f64 v[2:3], s[14:15], v[144:145], v[2:3]
	v_add_f64 v[0:1], v[2:3], v[0:1]
	v_mul_f64 v[2:3], v[100:101], s[30:31]
	v_accvgpr_write_b32 a15, v3
	v_mul_f64 v[72:73], v[102:103], s[34:35]
	v_accvgpr_write_b32 a14, v2
	v_fma_f64 v[2:3], v[138:139], s[10:11], -v[2:3]
	v_accvgpr_write_b32 a16, v72
	v_add_f64 v[2:3], v[6:7], v[2:3]
	v_accvgpr_write_b32 a17, v73
	v_fma_f64 v[72:73], v[146:147], s[14:15], -v[72:73]
	v_add_f64 v[2:3], v[72:73], v[2:3]
	v_mul_f64 v[72:73], v[106:107], s[38:39]
	v_accvgpr_write_b32 a10, v72
	v_accvgpr_write_b32 a11, v73
	v_fma_f64 v[72:73], s[18:19], v[150:151], v[72:73]
	v_add_f64 v[0:1], v[72:73], v[0:1]
	v_mul_f64 v[72:73], v[104:105], s[38:39]
	v_accvgpr_write_b32 a20, v72
	v_accvgpr_write_b32 a21, v73
	v_fma_f64 v[72:73], v[152:153], s[18:19], -v[72:73]
	v_add_f64 v[2:3], v[72:73], v[2:3]
	v_mul_f64 v[72:73], v[218:219], s[44:45]
	v_accvgpr_write_b32 a12, v72
	v_accvgpr_write_b32 a13, v73
	v_fma_f64 v[72:73], s[28:29], v[158:159], v[72:73]
	v_add_f64 v[0:1], v[72:73], v[0:1]
	v_mul_f64 v[72:73], v[216:217], s[44:45]
	v_accvgpr_write_b32 a24, v72
	;; [unrolled: 10-line block ×4, first 2 shown]
	v_accvgpr_write_b32 a33, v73
	v_fma_f64 v[72:73], v[172:173], s[16:17], -v[72:73]
	s_mov_b32 s53, 0x3feca52d
	s_mov_b32 s52, s26
	v_add_f64 v[2:3], v[72:73], v[2:3]
	v_mul_f64 v[72:73], v[254:255], s[52:53]
	v_accvgpr_write_b32 a26, v72
	v_accvgpr_write_b32 a27, v73
	v_fma_f64 v[72:73], s[6:7], v[176:177], v[72:73]
	v_add_f64 v[0:1], v[72:73], v[0:1]
	v_mul_f64 v[72:73], v[250:251], s[52:53]
	v_accvgpr_write_b32 a34, v72
	v_accvgpr_write_b32 a35, v73
	v_fma_f64 v[72:73], v[182:183], s[6:7], -v[72:73]
	s_mov_b32 s51, 0x3fd71e95
	s_mov_b32 s50, s20
	v_add_f64 v[2:3], v[72:73], v[2:3]
	v_mul_f64 v[72:73], v[130:131], s[50:51]
	v_accvgpr_write_b32 a30, v72
	v_accvgpr_write_b32 a31, v73
	v_fma_f64 v[72:73], s[0:1], v[190:191], v[72:73]
	v_add_f64 v[108:109], v[72:73], v[0:1]
	v_mul_f64 v[0:1], v[128:129], s[50:51]
	v_accvgpr_write_b32 a37, v1
	v_accvgpr_write_b32 a36, v0
	v_fma_f64 v[0:1], v[196:197], s[0:1], -v[0:1]
	v_mul_f64 v[228:229], v[96:97], s[26:27]
	v_add_f64 v[110:111], v[0:1], v[2:3]
	v_fma_f64 v[0:1], s[6:7], v[136:137], v[228:229]
	v_mul_f64 v[224:225], v[98:99], s[38:39]
	v_add_f64 v[0:1], v[4:5], v[0:1]
	v_fma_f64 v[2:3], s[18:19], v[144:145], v[224:225]
	v_mul_f64 v[244:245], v[100:101], s[26:27]
	v_add_f64 v[0:1], v[2:3], v[0:1]
	v_fma_f64 v[2:3], v[138:139], s[6:7], -v[244:245]
	v_mul_f64 v[248:249], v[102:103], s[38:39]
	s_mov_b32 s55, 0x3fc7851a
	s_mov_b32 s54, s44
	v_add_f64 v[2:3], v[6:7], v[2:3]
	v_fma_f64 v[72:73], v[146:147], s[18:19], -v[248:249]
	v_mul_f64 v[230:231], v[106:107], s[54:55]
	v_add_f64 v[2:3], v[72:73], v[2:3]
	v_fma_f64 v[72:73], s[28:29], v[150:151], v[230:231]
	v_mul_f64 v[252:253], v[104:105], s[54:55]
	v_add_f64 v[0:1], v[72:73], v[0:1]
	v_fma_f64 v[72:73], v[152:153], s[28:29], -v[252:253]
	v_mul_f64 v[232:233], v[218:219], s[40:41]
	v_add_f64 v[2:3], v[72:73], v[2:3]
	v_fma_f64 v[72:73], s[16:17], v[158:159], v[232:233]
	v_mul_f64 v[120:121], v[216:217], s[40:41]
	s_mov_b32 s49, 0x3fe58eea
	s_mov_b32 s48, s30
	v_add_f64 v[0:1], v[72:73], v[0:1]
	v_fma_f64 v[72:73], v[160:161], s[16:17], -v[120:121]
	v_mul_f64 v[236:237], v[226:227], s[48:49]
	v_add_f64 v[2:3], v[72:73], v[2:3]
	v_fma_f64 v[72:73], s[10:11], v[162:163], v[236:237]
	v_mul_f64 v[122:123], v[222:223], s[48:49]
	v_add_f64 v[0:1], v[72:73], v[0:1]
	v_fma_f64 v[72:73], v[166:167], s[10:11], -v[122:123]
	v_mul_f64 v[238:239], v[240:241], s[20:21]
	v_add_f64 v[2:3], v[72:73], v[2:3]
	v_fma_f64 v[72:73], s[0:1], v[170:171], v[238:239]
	v_mul_f64 v[124:125], v[234:235], s[20:21]
	;; [unrolled: 6-line block ×5, first 2 shown]
	v_add_f64 v[0:1], v[4:5], v[0:1]
	v_fma_f64 v[2:3], s[28:29], v[144:145], v[140:141]
	v_mul_f64 v[154:155], v[100:101], s[34:35]
	v_add_f64 v[2:3], v[2:3], v[0:1]
	v_fma_f64 v[0:1], v[138:139], s[14:15], -v[154:155]
	v_add_f64 v[72:73], v[6:7], v[0:1]
	v_mul_f64 v[0:1], v[102:103], s[44:45]
	v_fma_f64 v[74:75], v[146:147], s[28:29], -v[0:1]
	v_mul_f64 v[142:143], v[106:107], s[40:41]
	v_add_f64 v[72:73], v[74:75], v[72:73]
	v_fma_f64 v[74:75], s[16:17], v[150:151], v[142:143]
	v_mul_f64 v[164:165], v[104:105], s[40:41]
	v_add_f64 v[2:3], v[74:75], v[2:3]
	v_fma_f64 v[74:75], v[152:153], s[16:17], -v[164:165]
	v_mul_f64 v[148:149], v[218:219], s[50:51]
	v_add_f64 v[72:73], v[74:75], v[72:73]
	v_fma_f64 v[74:75], s[0:1], v[158:159], v[148:149]
	v_add_f64 v[2:3], v[74:75], v[2:3]
	v_mul_f64 v[74:75], v[216:217], s[50:51]
	v_fma_f64 v[76:77], v[160:161], s[0:1], -v[74:75]
	v_mul_f64 v[156:157], v[226:227], s[26:27]
	v_add_f64 v[72:73], v[76:77], v[72:73]
	v_fma_f64 v[76:77], s[6:7], v[162:163], v[156:157]
	v_mul_f64 v[174:175], v[222:223], s[26:27]
	v_add_f64 v[76:77], v[76:77], v[2:3]
	v_fma_f64 v[2:3], v[166:167], s[6:7], -v[174:175]
	v_add_f64 v[72:73], v[2:3], v[72:73]
	v_mul_f64 v[2:3], v[240:241], s[46:47]
	v_fma_f64 v[78:79], s[24:25], v[170:171], v[2:3]
	v_mul_f64 v[178:179], v[234:235], s[46:47]
	v_add_f64 v[76:77], v[78:79], v[76:77]
	v_fma_f64 v[78:79], v[172:173], s[24:25], -v[178:179]
	s_mov_b32 s57, 0x3fe9895b
	s_mov_b32 s56, s38
	v_add_f64 v[78:79], v[78:79], v[72:73]
	v_mul_f64 v[72:73], v[254:255], s[56:57]
	v_fma_f64 v[80:81], s[18:19], v[176:177], v[72:73]
	v_mul_f64 v[180:181], v[250:251], s[56:57]
	v_add_f64 v[76:77], v[80:81], v[76:77]
	v_fma_f64 v[80:81], v[182:183], s[18:19], -v[180:181]
	v_mul_f64 v[168:169], v[130:131], s[48:49]
	v_add_f64 v[78:79], v[80:81], v[78:79]
	v_fma_f64 v[80:81], s[10:11], v[190:191], v[168:169]
	v_mul_f64 v[184:185], v[128:129], s[48:49]
	v_add_f64 v[116:117], v[80:81], v[76:77]
	v_fma_f64 v[76:77], v[196:197], s[10:11], -v[184:185]
	v_add_f64 v[118:119], v[76:77], v[78:79]
	s_barrier
	s_and_saveexec_b64 s[22:23], vcc
	s_cbranch_execz .LBB0_7
; %bb.6:
	v_mul_f64 v[76:77], v[138:139], s[28:29]
	v_fma_f64 v[78:79], s[54:55], v[100:101], v[76:77]
	v_mul_f64 v[80:81], v[146:147], s[0:1]
	v_accvgpr_write_b32 a42, v82
	v_add_f64 v[78:79], v[6:7], v[78:79]
	v_accvgpr_write_b32 a43, v83
	v_fma_f64 v[82:83], s[20:21], v[102:103], v[80:81]
	v_add_f64 v[78:79], v[82:83], v[78:79]
	v_mul_f64 v[82:83], v[152:153], s[24:25]
	v_accvgpr_write_b32 a48, v84
	v_accvgpr_write_b32 a49, v85
	v_fma_f64 v[84:85], s[42:43], v[104:105], v[82:83]
	v_add_f64 v[78:79], v[84:85], v[78:79]
	v_mul_f64 v[84:85], v[160:161], s[10:11]
	v_accvgpr_write_b32 a44, v86
	v_accvgpr_write_b32 a45, v87
	v_fma_f64 v[86:87], s[30:31], v[216:217], v[84:85]
	v_add_f64 v[78:79], v[86:87], v[78:79]
	v_mul_f64 v[86:87], v[166:167], s[18:19]
	v_accvgpr_write_b32 a50, v88
	v_accvgpr_write_b32 a51, v89
	v_fma_f64 v[88:89], s[56:57], v[222:223], v[86:87]
	v_add_f64 v[78:79], v[88:89], v[78:79]
	v_mul_f64 v[88:89], v[172:173], s[6:7]
	v_accvgpr_write_b32 a46, v90
	v_accvgpr_write_b32 a47, v91
	v_fma_f64 v[90:91], s[26:27], v[234:235], v[88:89]
	v_add_f64 v[78:79], v[90:91], v[78:79]
	v_mul_f64 v[90:91], v[182:183], s[16:17]
	v_accvgpr_write_b32 a52, v92
	v_accvgpr_write_b32 a53, v93
	v_fma_f64 v[92:93], s[40:41], v[250:251], v[90:91]
	v_add_f64 v[78:79], v[92:93], v[78:79]
	v_mul_f64 v[92:93], v[96:97], s[44:45]
	v_accvgpr_write_b32 a54, v94
	v_accvgpr_write_b32 a62, v186
	v_accvgpr_write_b32 a55, v95
	v_fma_f64 v[94:95], s[28:29], v[136:137], v[92:93]
	v_accvgpr_write_b32 a63, v187
	v_mul_f64 v[186:187], v[98:99], s[50:51]
	v_accvgpr_write_b32 a56, v188
	v_add_f64 v[94:95], v[4:5], v[94:95]
	v_accvgpr_write_b32 a57, v189
	v_fma_f64 v[188:189], s[0:1], v[144:145], v[186:187]
	v_add_f64 v[94:95], v[188:189], v[94:95]
	v_mul_f64 v[188:189], v[106:107], s[46:47]
	v_accvgpr_write_b32 a64, v192
	v_accvgpr_write_b32 a65, v193
	v_fma_f64 v[192:193], s[24:25], v[150:151], v[188:189]
	v_add_f64 v[94:95], v[192:193], v[94:95]
	v_mul_f64 v[192:193], v[218:219], s[48:49]
	v_accvgpr_write_b32 a58, v194
	;; [unrolled: 5-line block ×4, first 2 shown]
	v_accvgpr_write_b32 a61, v201
	v_fma_f64 v[200:201], s[6:7], v[170:171], v[198:199]
	v_add_f64 v[94:95], v[200:201], v[94:95]
	v_mul_f64 v[200:201], v[254:255], s[36:37]
	v_mov_b32_e32 v221, v202
	v_fma_f64 v[202:203], s[16:17], v[176:177], v[200:201]
	v_add_f64 v[94:95], v[202:203], v[94:95]
	v_mul_f64 v[202:203], v[196:197], s[14:15]
	v_accvgpr_write_b32 a0, v204
	v_fma_f64 v[204:205], s[34:35], v[128:129], v[202:203]
	v_accvgpr_write_b32 a70, v230
	s_mov_b32 s59, 0x3fefdd0d
	s_mov_b32 s58, s34
	v_fmac_f64_e32 v[76:77], s[44:45], v[100:101]
	v_accvgpr_write_b32 a71, v231
	v_add_f64 v[230:231], v[204:205], v[78:79]
	v_mul_f64 v[204:205], v[130:131], s[58:59]
	v_fmac_f64_e32 v[80:81], s[50:51], v[102:103]
	v_add_f64 v[76:77], v[6:7], v[76:77]
	v_fma_f64 v[78:79], s[14:15], v[190:191], v[204:205]
	v_accvgpr_write_b32 a68, v228
	v_add_f64 v[76:77], v[80:81], v[76:77]
	v_fma_f64 v[80:81], v[136:137], s[28:29], -v[92:93]
	v_accvgpr_write_b32 a69, v229
	v_add_f64 v[228:229], v[78:79], v[94:95]
	v_fmac_f64_e32 v[82:83], s[46:47], v[104:105]
	v_fma_f64 v[78:79], v[144:145], s[0:1], -v[186:187]
	v_add_f64 v[80:81], v[4:5], v[80:81]
	v_add_f64 v[76:77], v[82:83], v[76:77]
	v_fmac_f64_e32 v[84:85], s[48:49], v[216:217]
	v_add_f64 v[78:79], v[78:79], v[80:81]
	v_fma_f64 v[80:81], v[150:151], s[24:25], -v[188:189]
	v_add_f64 v[76:77], v[84:85], v[76:77]
	v_fmac_f64_e32 v[86:87], s[38:39], v[222:223]
	v_add_f64 v[78:79], v[80:81], v[78:79]
	v_fma_f64 v[80:81], v[158:159], s[10:11], -v[192:193]
	;; [unrolled: 4-line block ×4, first 2 shown]
	v_accvgpr_write_b32 a38, v228
	v_add_f64 v[76:77], v[90:91], v[76:77]
	v_add_f64 v[78:79], v[80:81], v[78:79]
	v_fma_f64 v[80:81], v[176:177], s[16:17], -v[200:201]
	v_fmac_f64_e32 v[202:203], s[58:59], v[128:129]
	v_accvgpr_write_b32 a39, v229
	v_accvgpr_write_b32 a40, v230
	;; [unrolled: 1-line block ×3, first 2 shown]
	v_add_f64 v[80:81], v[80:81], v[78:79]
	v_add_f64 v[230:231], v[202:203], v[76:77]
	v_fma_f64 v[76:77], v[190:191], s[14:15], -v[204:205]
	v_mul_f64 v[84:85], v[138:139], s[24:25]
	v_add_f64 v[228:229], v[76:77], v[80:81]
	v_fma_f64 v[80:81], s[42:43], v[100:101], v[84:85]
	v_mul_f64 v[86:87], v[146:147], s[6:7]
	v_add_f64 v[80:81], v[6:7], v[80:81]
	v_fma_f64 v[82:83], s[26:27], v[102:103], v[86:87]
	;; [unrolled: 3-line block ×9, first 2 shown]
	v_add_f64 v[82:83], v[194:195], v[82:83]
	v_mul_f64 v[194:195], v[106:107], s[34:35]
	v_fma_f64 v[198:199], s[14:15], v[150:151], v[194:195]
	v_add_f64 v[82:83], v[198:199], v[82:83]
	v_mul_f64 v[198:199], v[218:219], s[56:57]
	v_fma_f64 v[200:201], s[18:19], v[158:159], v[198:199]
	;; [unrolled: 3-line block ×5, first 2 shown]
	v_mul_f64 v[78:79], v[196:197], s[16:17]
	v_accvgpr_write_b32 a2, v206
	v_add_f64 v[76:77], v[76:77], v[82:83]
	v_fma_f64 v[82:83], s[40:41], v[128:129], v[78:79]
	v_accvgpr_write_b32 a3, v207
	v_accvgpr_write_b32 a4, v208
	v_accvgpr_write_b32 a5, v209
	v_mul_f64 v[206:207], v[130:131], s[36:37]
	v_add_f64 v[82:83], v[82:83], v[80:81]
	v_fma_f64 v[80:81], s[16:17], v[190:191], v[206:207]
	v_fmac_f64_e32 v[84:85], s[46:47], v[100:101]
	v_add_f64 v[80:81], v[80:81], v[76:77]
	v_fmac_f64_e32 v[86:87], s[52:53], v[102:103]
	v_add_f64 v[76:77], v[6:7], v[84:85]
	v_add_f64 v[76:77], v[86:87], v[76:77]
	v_fma_f64 v[86:87], v[136:137], s[24:25], -v[188:189]
	v_fmac_f64_e32 v[88:89], s[34:35], v[104:105]
	v_fma_f64 v[84:85], v[144:145], s[6:7], -v[192:193]
	v_add_f64 v[86:87], v[4:5], v[86:87]
	v_add_f64 v[76:77], v[88:89], v[76:77]
	v_fmac_f64_e32 v[90:91], s[56:57], v[216:217]
	v_add_f64 v[84:85], v[84:85], v[86:87]
	v_fma_f64 v[86:87], v[150:151], s[14:15], -v[194:195]
	v_add_f64 v[76:77], v[90:91], v[76:77]
	v_fmac_f64_e32 v[92:93], s[20:21], v[222:223]
	v_add_f64 v[84:85], v[86:87], v[84:85]
	v_fma_f64 v[86:87], v[158:159], s[18:19], -v[198:199]
	;; [unrolled: 4-line block ×4, first 2 shown]
	v_add_f64 v[76:77], v[186:187], v[76:77]
	v_add_f64 v[84:85], v[86:87], v[84:85]
	v_fma_f64 v[86:87], v[176:177], s[10:11], -v[204:205]
	v_fmac_f64_e32 v[78:79], s[36:37], v[128:129]
	v_add_f64 v[84:85], v[86:87], v[84:85]
	v_add_f64 v[86:87], v[78:79], v[76:77]
	v_fma_f64 v[76:77], v[190:191], s[16:17], -v[206:207]
	v_add_f64 v[84:85], v[76:77], v[84:85]
	v_mul_f64 v[76:77], v[138:139], s[18:19]
	v_fma_f64 v[78:79], s[56:57], v[100:101], v[76:77]
	v_mul_f64 v[92:93], v[146:147], s[16:17]
	v_add_f64 v[78:79], v[6:7], v[78:79]
	v_fma_f64 v[88:89], s[36:37], v[102:103], v[92:93]
	v_mul_f64 v[94:95], v[152:153], s[0:1]
	v_add_f64 v[78:79], v[88:89], v[78:79]
	;; [unrolled: 3-line block ×6, first 2 shown]
	v_fma_f64 v[88:89], s[54:55], v[250:251], v[194:195]
	v_mul_f64 v[198:199], v[96:97], s[38:39]
	v_fmac_f64_e32 v[76:77], s[38:39], v[100:101]
	v_add_f64 v[78:79], v[88:89], v[78:79]
	v_fma_f64 v[88:89], s[18:19], v[136:137], v[198:199]
	v_mul_f64 v[200:201], v[98:99], s[40:41]
	v_fmac_f64_e32 v[92:93], s[40:41], v[102:103]
	v_add_f64 v[76:77], v[6:7], v[76:77]
	v_add_f64 v[88:89], v[4:5], v[88:89]
	v_fma_f64 v[90:91], s[16:17], v[144:145], v[200:201]
	v_mul_f64 v[202:203], v[106:107], s[20:21]
	v_add_f64 v[76:77], v[92:93], v[76:77]
	v_fmac_f64_e32 v[94:95], s[20:21], v[104:105]
	v_add_f64 v[88:89], v[90:91], v[88:89]
	v_fma_f64 v[90:91], s[0:1], v[150:151], v[202:203]
	v_mul_f64 v[204:205], v[218:219], s[46:47]
	v_add_f64 v[76:77], v[94:95], v[76:77]
	v_fma_f64 v[94:95], v[136:137], s[18:19], -v[198:199]
	v_add_f64 v[88:89], v[90:91], v[88:89]
	v_fma_f64 v[90:91], s[24:25], v[158:159], v[204:205]
	v_mul_f64 v[206:207], v[226:227], s[58:59]
	v_fma_f64 v[92:93], v[144:145], s[16:17], -v[200:201]
	v_add_f64 v[94:95], v[4:5], v[94:95]
	v_add_f64 v[88:89], v[90:91], v[88:89]
	v_fma_f64 v[90:91], s[14:15], v[162:163], v[206:207]
	v_mul_f64 v[208:209], v[240:241], s[30:31]
	v_accvgpr_write_b32 a74, v210
	v_fmac_f64_e32 v[186:187], s[46:47], v[216:217]
	v_add_f64 v[92:93], v[92:93], v[94:95]
	v_fma_f64 v[94:95], v[150:151], s[0:1], -v[202:203]
	v_add_f64 v[88:89], v[90:91], v[88:89]
	v_fma_f64 v[90:91], s[10:11], v[170:171], v[208:209]
	v_accvgpr_write_b32 a75, v211
	v_mul_f64 v[210:211], v[254:255], s[44:45]
	v_accvgpr_write_b32 a72, v212
	v_add_f64 v[76:77], v[186:187], v[76:77]
	v_fmac_f64_e32 v[188:189], s[58:59], v[222:223]
	v_add_f64 v[92:93], v[94:95], v[92:93]
	v_fma_f64 v[94:95], v[158:159], s[24:25], -v[204:205]
	v_add_f64 v[88:89], v[90:91], v[88:89]
	v_fma_f64 v[90:91], s[28:29], v[176:177], v[210:211]
	v_accvgpr_write_b32 a73, v213
	v_mul_f64 v[212:213], v[196:197], s[6:7]
	v_add_f64 v[76:77], v[188:189], v[76:77]
	v_fmac_f64_e32 v[192:193], s[30:31], v[234:235]
	v_add_f64 v[92:93], v[94:95], v[92:93]
	v_fma_f64 v[94:95], v[162:163], s[14:15], -v[206:207]
	v_add_f64 v[88:89], v[90:91], v[88:89]
	v_fma_f64 v[90:91], s[26:27], v[128:129], v[212:213]
	v_add_f64 v[76:77], v[192:193], v[76:77]
	v_fmac_f64_e32 v[194:195], s[44:45], v[250:251]
	v_add_f64 v[92:93], v[94:95], v[92:93]
	v_fma_f64 v[94:95], v[170:171], s[10:11], -v[208:209]
	v_add_f64 v[90:91], v[90:91], v[78:79]
	v_mul_f64 v[78:79], v[130:131], s[52:53]
	v_add_f64 v[76:77], v[194:195], v[76:77]
	v_add_f64 v[92:93], v[94:95], v[92:93]
	v_fma_f64 v[94:95], v[176:177], s[28:29], -v[210:211]
	v_fmac_f64_e32 v[212:213], s[52:53], v[128:129]
	v_add_f64 v[92:93], v[94:95], v[92:93]
	v_add_f64 v[94:95], v[212:213], v[76:77]
	v_fma_f64 v[76:77], v[190:191], s[6:7], -v[78:79]
	v_accvgpr_write_b32 a76, v214
	v_add_f64 v[92:93], v[76:77], v[92:93]
	v_mul_f64 v[76:77], v[138:139], s[16:17]
	v_accvgpr_write_b32 a77, v215
	v_fma_f64 v[214:215], s[6:7], v[190:191], v[78:79]
	v_fma_f64 v[78:79], s[40:41], v[100:101], v[76:77]
	v_mul_f64 v[186:187], v[146:147], s[24:25]
	v_add_f64 v[78:79], v[6:7], v[78:79]
	v_fma_f64 v[188:189], s[46:47], v[102:103], v[186:187]
	v_add_f64 v[78:79], v[188:189], v[78:79]
	v_mul_f64 v[188:189], v[152:153], s[10:11]
	v_fma_f64 v[192:193], s[30:31], v[104:105], v[188:189]
	v_add_f64 v[78:79], v[192:193], v[78:79]
	v_mul_f64 v[192:193], v[160:161], s[6:7]
	;; [unrolled: 3-line block ×5, first 2 shown]
	v_fma_f64 v[202:203], s[50:51], v[250:251], v[200:201]
	v_mul_f64 v[204:205], v[96:97], s[36:37]
	v_add_f64 v[78:79], v[202:203], v[78:79]
	v_mul_f64 v[202:203], v[98:99], s[42:43]
	v_fma_f64 v[96:97], s[16:17], v[136:137], v[204:205]
	v_add_f64 v[96:97], v[4:5], v[96:97]
	v_fma_f64 v[98:99], s[24:25], v[144:145], v[202:203]
	v_mul_f64 v[106:107], v[106:107], s[48:49]
	v_add_f64 v[96:97], v[98:99], v[96:97]
	v_fma_f64 v[98:99], s[10:11], v[150:151], v[106:107]
	v_mul_f64 v[206:207], v[218:219], s[26:27]
	;; [unrolled: 3-line block ×5, first 2 shown]
	v_add_f64 v[88:89], v[214:215], v[88:89]
	v_add_f64 v[96:97], v[98:99], v[96:97]
	v_fma_f64 v[98:99], s[0:1], v[176:177], v[212:213]
	v_mul_f64 v[214:215], v[196:197], s[18:19]
	v_add_f64 v[96:97], v[98:99], v[96:97]
	v_fma_f64 v[98:99], s[56:57], v[128:129], v[214:215]
	v_add_f64 v[98:99], v[98:99], v[78:79]
	v_mul_f64 v[78:79], v[130:131], s[38:39]
	v_fma_f64 v[130:131], s[18:19], v[190:191], v[78:79]
	v_fmac_f64_e32 v[76:77], s[36:37], v[100:101]
	v_add_f64 v[96:97], v[130:131], v[96:97]
	v_fmac_f64_e32 v[186:187], s[42:43], v[102:103]
	v_add_f64 v[76:77], v[6:7], v[76:77]
	v_fma_f64 v[102:103], v[136:137], s[16:17], -v[204:205]
	v_mul_f64 v[130:131], v[146:147], s[28:29]
	v_fmac_f64_e32 v[188:189], s[48:49], v[104:105]
	v_add_f64 v[76:77], v[186:187], v[76:77]
	v_fma_f64 v[100:101], v[144:145], s[24:25], -v[202:203]
	v_add_f64 v[102:103], v[4:5], v[102:103]
	v_add_f64 v[0:1], v[0:1], v[130:131]
	v_mul_f64 v[130:131], v[138:139], s[14:15]
	v_fmac_f64_e32 v[214:215], s[38:39], v[128:129]
	v_fmac_f64_e32 v[192:193], s[26:27], v[216:217]
	v_add_f64 v[76:77], v[188:189], v[76:77]
	v_add_f64 v[100:101], v[100:101], v[102:103]
	v_fma_f64 v[102:103], v[150:151], s[10:11], -v[106:107]
	v_mul_f64 v[128:129], v[160:161], s[0:1]
	v_add_f64 v[130:131], v[154:155], v[130:131]
	v_fmac_f64_e32 v[194:195], s[44:45], v[222:223]
	v_add_f64 v[76:77], v[192:193], v[76:77]
	v_add_f64 v[100:101], v[102:103], v[100:101]
	v_fma_f64 v[102:103], v[158:159], s[6:7], -v[206:207]
	v_add_f64 v[74:75], v[74:75], v[128:129]
	v_mul_f64 v[128:129], v[152:153], s[16:17]
	v_add_f64 v[130:131], v[6:7], v[130:131]
	v_fmac_f64_e32 v[198:199], s[58:59], v[234:235]
	v_add_f64 v[76:77], v[194:195], v[76:77]
	v_add_f64 v[100:101], v[102:103], v[100:101]
	v_fma_f64 v[102:103], v[162:163], s[28:29], -v[208:209]
	v_add_f64 v[128:129], v[164:165], v[128:129]
	v_add_f64 v[0:1], v[0:1], v[130:131]
	v_fmac_f64_e32 v[200:201], s[20:21], v[250:251]
	v_add_f64 v[76:77], v[198:199], v[76:77]
	v_add_f64 v[100:101], v[102:103], v[100:101]
	v_fma_f64 v[102:103], v[170:171], s[14:15], -v[210:211]
	v_mul_f64 v[106:107], v[166:167], s[6:7]
	v_add_f64 v[0:1], v[128:129], v[0:1]
	v_add_f64 v[76:77], v[200:201], v[76:77]
	;; [unrolled: 1-line block ×3, first 2 shown]
	v_fma_f64 v[102:103], v[176:177], s[0:1], -v[212:213]
	v_mul_f64 v[104:105], v[172:173], s[24:25]
	v_add_f64 v[106:107], v[174:175], v[106:107]
	v_add_f64 v[0:1], v[74:75], v[0:1]
	;; [unrolled: 1-line block ×4, first 2 shown]
	v_fma_f64 v[76:77], v[190:191], s[18:19], -v[78:79]
	v_mul_f64 v[78:79], v[182:183], s[18:19]
	v_add_f64 v[104:105], v[178:179], v[104:105]
	v_add_f64 v[0:1], v[106:107], v[0:1]
	v_mul_f64 v[130:131], v[136:137], s[14:15]
	v_add_f64 v[78:79], v[180:181], v[78:79]
	v_add_f64 v[0:1], v[104:105], v[0:1]
	v_mul_f64 v[128:129], v[144:145], s[28:29]
	v_add_f64 v[130:131], v[130:131], -v[134:135]
	v_add_f64 v[0:1], v[78:79], v[0:1]
	v_mul_f64 v[78:79], v[176:177], s[18:19]
	v_mul_f64 v[106:107], v[150:151], s[16:17]
	v_add_f64 v[128:129], v[128:129], -v[140:141]
	v_add_f64 v[130:131], v[4:5], v[130:131]
	v_add_f64 v[72:73], v[78:79], -v[72:73]
	v_mul_f64 v[78:79], v[170:171], s[24:25]
	v_mul_f64 v[104:105], v[158:159], s[0:1]
	v_add_f64 v[106:107], v[106:107], -v[142:143]
	v_add_f64 v[128:129], v[128:129], v[130:131]
	v_add_f64 v[2:3], v[78:79], -v[2:3]
	v_mul_f64 v[78:79], v[162:163], s[6:7]
	v_add_f64 v[104:105], v[104:105], -v[148:149]
	v_add_f64 v[106:107], v[106:107], v[128:129]
	v_add_f64 v[78:79], v[78:79], -v[156:157]
	v_add_f64 v[104:105], v[104:105], v[106:107]
	v_add_f64 v[78:79], v[78:79], v[104:105]
	v_mul_f64 v[74:75], v[190:191], s[10:11]
	v_add_f64 v[2:3], v[2:3], v[78:79]
	v_add_f64 v[100:101], v[76:77], v[100:101]
	v_mul_f64 v[76:77], v[196:197], s[10:11]
	v_add_f64 v[74:75], v[74:75], -v[168:169]
	v_add_f64 v[2:3], v[72:73], v[2:3]
	v_add_f64 v[76:77], v[184:185], v[76:77]
	;; [unrolled: 1-line block ×3, first 2 shown]
	v_mul_f64 v[74:75], v[166:167], s[10:11]
	v_add_f64 v[106:107], v[76:77], v[0:1]
	v_add_f64 v[74:75], v[122:123], v[74:75]
	v_mul_f64 v[76:77], v[160:161], s[16:17]
	v_mul_f64 v[122:123], v[138:139], s[6:7]
	v_add_f64 v[76:77], v[120:121], v[76:77]
	v_mul_f64 v[120:121], v[146:147], s[18:19]
	v_add_f64 v[122:123], v[244:245], v[122:123]
	;; [unrolled: 2-line block ×3, first 2 shown]
	v_add_f64 v[122:123], v[6:7], v[122:123]
	v_add_f64 v[78:79], v[252:253], v[78:79]
	;; [unrolled: 1-line block ×3, first 2 shown]
	v_mul_f64 v[0:1], v[196:197], s[24:25]
	v_add_f64 v[78:79], v[78:79], v[120:121]
	v_add_f64 v[0:1], v[132:133], v[0:1]
	v_mul_f64 v[72:73], v[172:173], s[0:1]
	v_add_f64 v[76:77], v[76:77], v[78:79]
	v_mul_f64 v[78:79], v[144:145], s[10:11]
	v_mul_f64 v[130:131], v[144:145], s[14:15]
	;; [unrolled: 1-line block ×3, first 2 shown]
	v_accvgpr_read_b32 v145, a71
	v_add_f64 v[72:73], v[124:125], v[72:73]
	v_add_f64 v[74:75], v[74:75], v[76:77]
	v_mul_f64 v[142:143], v[150:151], s[28:29]
	v_accvgpr_read_b32 v144, a70
	v_mul_f64 v[76:77], v[146:147], s[10:11]
	v_add_f64 v[72:73], v[72:73], v[74:75]
	v_mul_f64 v[74:75], v[146:147], s[14:15]
	v_add_f64 v[142:143], v[142:143], -v[144:145]
	v_mul_f64 v[144:145], v[150:151], s[6:7]
	v_mul_f64 v[146:147], v[152:153], s[6:7]
	;; [unrolled: 1-line block ×4, first 2 shown]
	v_accvgpr_read_b32 v153, a69
	v_mul_f64 v[128:129], v[136:137], s[6:7]
	v_accvgpr_read_b32 v152, a68
	v_add_f64 v[128:129], v[128:129], -v[152:153]
	v_add_f64 v[132:133], v[132:133], -v[224:225]
	v_add_f64 v[128:129], v[4:5], v[128:129]
	v_mul_f64 v[2:3], v[182:183], s[14:15]
	v_mul_f64 v[140:141], v[158:159], s[16:17]
	v_add_f64 v[128:129], v[132:133], v[128:129]
	v_add_f64 v[2:3], v[126:127], v[2:3]
	v_mul_f64 v[122:123], v[138:139], s[0:1]
	v_mul_f64 v[126:127], v[138:139], s[10:11]
	;; [unrolled: 1-line block ×3, first 2 shown]
	v_add_f64 v[140:141], v[140:141], -v[232:233]
	v_add_f64 v[128:129], v[142:143], v[128:129]
	v_mul_f64 v[124:125], v[136:137], s[0:1]
	v_mul_f64 v[120:121], v[136:137], s[10:11]
	;; [unrolled: 1-line block ×3, first 2 shown]
	v_add_f64 v[138:139], v[138:139], -v[236:237]
	v_add_f64 v[128:129], v[140:141], v[128:129]
	v_mul_f64 v[134:135], v[176:177], s[14:15]
	v_add_f64 v[136:137], v[136:137], -v[238:239]
	v_add_f64 v[128:129], v[138:139], v[128:129]
	v_add_f64 v[2:3], v[2:3], v[72:73]
	v_mul_f64 v[72:73], v[190:191], s[24:25]
	v_add_f64 v[134:135], v[134:135], -v[242:243]
	v_add_f64 v[128:129], v[136:137], v[128:129]
	v_add_f64 v[72:73], v[72:73], -v[246:247]
	v_add_f64 v[128:129], v[134:135], v[128:129]
	v_mul_f64 v[134:135], v[176:177], s[24:25]
	v_add_f64 v[2:3], v[0:1], v[2:3]
	v_add_f64 v[0:1], v[72:73], v[128:129]
	v_mul_f64 v[72:73], v[176:177], s[6:7]
	v_accvgpr_read_b32 v177, a35
	v_mul_f64 v[132:133], v[160:161], s[14:15]
	v_mul_f64 v[156:157], v[160:161], s[28:29]
	;; [unrolled: 1-line block ×5, first 2 shown]
	v_accvgpr_read_b32 v176, a34
	v_add_f64 v[166:167], v[176:177], v[166:167]
	v_accvgpr_read_b32 v177, a33
	v_mul_f64 v[164:165], v[172:173], s[16:17]
	v_accvgpr_read_b32 v176, a32
	v_add_f64 v[164:165], v[176:177], v[164:165]
	v_accvgpr_read_b32 v177, a29
	v_accvgpr_read_b32 v176, a28
	v_add_f64 v[160:161], v[176:177], v[160:161]
	v_accvgpr_read_b32 v177, a25
	;; [unrolled: 3-line block ×5, first 2 shown]
	v_accvgpr_read_b32 v176, a14
	v_add_f64 v[126:127], v[176:177], v[126:127]
	v_add_f64 v[126:127], v[6:7], v[126:127]
	;; [unrolled: 1-line block ×5, first 2 shown]
	v_accvgpr_read_b32 v157, a19
	v_mul_f64 v[152:153], v[158:159], s[14:15]
	v_mul_f64 v[154:155], v[158:159], s[28:29]
	;; [unrolled: 1-line block ×3, first 2 shown]
	v_accvgpr_read_b32 v156, a18
	v_add_f64 v[156:157], v[158:159], -v[156:157]
	v_accvgpr_read_b32 v159, a13
	v_accvgpr_read_b32 v158, a12
	v_add_f64 v[154:155], v[154:155], -v[158:159]
	v_accvgpr_read_b32 v159, a11
	;; [unrolled: 3-line block ×5, first 2 shown]
	v_add_f64 v[120:121], v[4:5], v[120:121]
	v_accvgpr_read_b32 v150, a26
	v_add_f64 v[120:121], v[130:131], v[120:121]
	v_add_f64 v[72:73], v[72:73], -v[150:151]
	v_accvgpr_read_b32 v151, a23
	v_add_f64 v[120:121], v[148:149], v[120:121]
	v_mul_f64 v[142:143], v[162:163], s[16:17]
	v_mul_f64 v[162:163], v[170:171], s[16:17]
	v_accvgpr_read_b32 v150, a22
	v_add_f64 v[120:121], v[154:155], v[120:121]
	v_accvgpr_read_b32 v127, a31
	v_add_f64 v[150:151], v[162:163], -v[150:151]
	v_add_f64 v[120:121], v[156:157], v[120:121]
	v_mul_f64 v[174:175], v[190:191], s[0:1]
	v_accvgpr_read_b32 v126, a30
	v_add_f64 v[120:121], v[150:151], v[120:121]
	v_add_f64 v[126:127], v[174:175], -v[126:127]
	v_add_f64 v[72:73], v[72:73], v[120:121]
	v_add_f64 v[72:73], v[126:127], v[72:73]
	v_accvgpr_read_b32 v127, a75
	v_accvgpr_read_b32 v131, a65
	v_mul_f64 v[128:129], v[182:183], s[24:25]
	v_accvgpr_read_b32 v126, a74
	v_accvgpr_read_b32 v130, a64
	v_add_f64 v[126:127], v[126:127], v[128:129]
	v_accvgpr_read_b32 v129, a67
	v_add_f64 v[130:131], v[130:131], v[140:141]
	v_accvgpr_read_b32 v141, a51
	v_mul_f64 v[136:137], v[172:173], s[18:19]
	v_accvgpr_read_b32 v128, a66
	v_accvgpr_read_b32 v140, a50
	v_add_f64 v[128:129], v[128:129], v[136:137]
	v_accvgpr_read_b32 v137, a63
	v_add_f64 v[76:77], v[140:141], v[76:77]
	v_accvgpr_read_b32 v141, a49
	v_accvgpr_read_b32 v136, a62
	v_accvgpr_read_b32 v140, a48
	v_add_f64 v[132:133], v[136:137], v[132:133]
	v_accvgpr_read_b32 v137, a53
	v_add_f64 v[122:123], v[140:141], v[122:123]
	v_accvgpr_read_b32 v136, a52
	v_add_f64 v[122:123], v[6:7], v[122:123]
	v_add_f64 v[136:137], v[136:137], v[146:147]
	;; [unrolled: 1-line block ×5, first 2 shown]
	v_accvgpr_read_b32 v121, a77
	v_add_f64 v[76:77], v[130:131], v[76:77]
	v_mul_f64 v[172:173], v[196:197], s[28:29]
	v_accvgpr_read_b32 v120, a76
	v_add_f64 v[76:77], v[128:129], v[76:77]
	v_add_f64 v[120:121], v[120:121], v[172:173]
	;; [unrolled: 1-line block ×4, first 2 shown]
	v_accvgpr_read_b32 v121, a61
	v_accvgpr_read_b32 v120, a60
	v_add_f64 v[120:121], v[134:135], -v[120:121]
	v_accvgpr_read_b32 v135, a45
	v_accvgpr_read_b32 v134, a44
	v_add_f64 v[78:79], v[78:79], -v[134:135]
	;; [unrolled: 3-line block ×3, first 2 shown]
	v_add_f64 v[124:125], v[4:5], v[124:125]
	v_add_f64 v[6:7], v[6:7], v[14:15]
	;; [unrolled: 1-line block ×17, first 2 shown]
	v_accvgpr_read_b32 v133, a47
	v_add_f64 v[6:7], v[46:47], v[6:7]
	v_add_f64 v[4:5], v[44:45], v[4:5]
	v_accvgpr_read_b32 v131, a55
	v_accvgpr_read_b32 v132, a46
	v_add_f64 v[6:7], v[42:43], v[6:7]
	v_add_f64 v[4:5], v[40:41], v[4:5]
	v_accvgpr_read_b32 v129, a57
	v_accvgpr_read_b32 v130, a54
	v_add_f64 v[132:133], v[144:145], -v[132:133]
	v_add_f64 v[78:79], v[78:79], v[124:125]
	v_add_f64 v[6:7], v[50:51], v[6:7]
	;; [unrolled: 1-line block ×3, first 2 shown]
	v_accvgpr_read_b32 v127, a59
	v_accvgpr_read_b32 v128, a56
	v_add_f64 v[130:131], v[152:153], -v[130:131]
	v_add_f64 v[78:79], v[132:133], v[78:79]
	v_add_f64 v[6:7], v[54:55], v[6:7]
	;; [unrolled: 1-line block ×3, first 2 shown]
	v_mul_f64 v[138:139], v[170:171], s[18:19]
	v_accvgpr_read_b32 v171, a37
	v_accvgpr_read_b32 v126, a58
	v_add_f64 v[128:129], v[142:143], -v[128:129]
	v_add_f64 v[78:79], v[130:131], v[78:79]
	v_add_f64 v[6:7], v[58:59], v[6:7]
	;; [unrolled: 1-line block ×3, first 2 shown]
	v_mov_b32_e32 v202, v221
	v_mul_f64 v[168:169], v[196:197], s[0:1]
	v_accvgpr_read_b32 v170, a36
	v_add_f64 v[74:75], v[160:161], v[74:75]
	v_accvgpr_read_b32 v77, a73
	v_add_f64 v[126:127], v[138:139], -v[126:127]
	v_add_f64 v[78:79], v[128:129], v[78:79]
	v_add_f64 v[6:7], v[62:63], v[6:7]
	;; [unrolled: 1-line block ×3, first 2 shown]
	v_accvgpr_read_b32 v209, a5
	v_add_f64 v[168:169], v[170:171], v[168:169]
	v_mul_f64 v[170:171], v[190:191], s[28:29]
	v_add_f64 v[74:75], v[164:165], v[74:75]
	v_accvgpr_read_b32 v76, a72
	v_add_f64 v[78:79], v[126:127], v[78:79]
	v_add_f64 v[6:7], v[66:67], v[6:7]
	;; [unrolled: 1-line block ×3, first 2 shown]
	v_mul_lo_u16_e32 v8, 17, v202
	v_accvgpr_read_b32 v204, a0
	v_accvgpr_read_b32 v208, a4
	;; [unrolled: 1-line block ×4, first 2 shown]
	v_add_f64 v[74:75], v[166:167], v[74:75]
	v_add_f64 v[76:77], v[170:171], -v[76:77]
	v_add_f64 v[78:79], v[120:121], v[78:79]
	v_add_f64 v[6:7], v[70:71], v[6:7]
	;; [unrolled: 1-line block ×3, first 2 shown]
	v_lshlrev_b32_e32 v8, 4, v8
	v_add_f64 v[74:75], v[168:169], v[74:75]
	v_add_f64 v[120:121], v[76:77], v[78:79]
	ds_write_b128 v8, v[4:7]
	ds_write_b128 v8, v[120:123] offset:16
	ds_write_b128 v8, v[72:75] offset:32
	;; [unrolled: 1-line block ×16, first 2 shown]
.LBB0_7:
	s_or_b64 exec, exec, s[22:23]
	s_movk_i32 s0, 0xf1
	v_mul_lo_u16_sdwa v0, v202, s0 dst_sel:DWORD dst_unused:UNUSED_PAD src0_sel:BYTE_0 src1_sel:DWORD
	v_lshrrev_b16_e32 v82, 12, v0
	v_mul_lo_u16_e32 v0, 17, v82
	v_sub_u16_e32 v0, v202, v0
	v_and_b32_e32 v83, 0xff, v0
	v_mul_u32_u24_e32 v0, 12, v83
	v_lshlrev_b32_e32 v0, 4, v0
	s_load_dwordx4 s[4:7], s[4:5], 0x0
	s_waitcnt lgkmcnt(0)
	s_barrier
	global_load_dwordx4 v[210:213], v0, s[2:3]
	global_load_dwordx4 v[14:17], v0, s[2:3] offset:16
	global_load_dwordx4 v[10:13], v0, s[2:3] offset:32
	;; [unrolled: 1-line block ×11, first 2 shown]
	ds_read_b128 v[84:87], v220
	ds_read_b128 v[40:43], v220 offset:2176
	ds_read_b128 v[48:51], v220 offset:4352
	;; [unrolled: 1-line block ×12, first 2 shown]
	s_mov_b32 s26, 0x42a4c3d2
	s_mov_b32 s36, 0x66966769
	;; [unrolled: 1-line block ×30, first 2 shown]
	v_mul_u32_u24_e32 v4, 0xdd, v82
	s_waitcnt lgkmcnt(0)
	s_barrier
	s_waitcnt vmcnt(11)
	v_mul_f64 v[80:81], v[42:43], v[212:213]
	s_waitcnt vmcnt(10)
	v_mul_f64 v[134:135], v[50:51], v[16:17]
	v_fma_f64 v[162:163], v[40:41], v[210:211], -v[80:81]
	v_mul_f64 v[132:133], v[40:41], v[212:213]
	s_waitcnt vmcnt(9)
	v_mul_f64 v[138:139], v[66:67], v[12:13]
	v_fma_f64 v[134:135], v[48:49], v[14:15], -v[134:135]
	v_add_f64 v[40:41], v[84:85], v[162:163]
	v_mul_f64 v[136:137], v[48:49], v[16:17]
	s_waitcnt vmcnt(8)
	v_mul_f64 v[140:141], v[74:75], v[8:9]
	v_fmac_f64_e32 v[132:133], v[42:43], v[210:211]
	v_fma_f64 v[80:81], v[64:65], v[10:11], -v[138:139]
	v_add_f64 v[40:41], v[40:41], v[134:135]
	v_mul_f64 v[76:77], v[64:65], v[12:13]
	v_mul_f64 v[68:69], v[72:73], v[8:9]
	s_waitcnt vmcnt(7)
	v_mul_f64 v[142:143], v[90:91], v[34:35]
	v_fmac_f64_e32 v[136:137], v[50:51], v[14:15]
	v_fma_f64 v[72:73], v[72:73], v[6:7], -v[140:141]
	v_add_f64 v[42:43], v[86:87], v[132:133]
	v_add_f64 v[40:41], v[40:41], v[80:81]
	s_waitcnt vmcnt(6)
	v_mul_f64 v[144:145], v[94:95], v[30:31]
	v_fmac_f64_e32 v[76:77], v[66:67], v[10:11]
	v_fma_f64 v[64:65], v[88:89], v[32:33], -v[142:143]
	v_add_f64 v[42:43], v[42:43], v[136:137]
	v_add_f64 v[40:41], v[40:41], v[72:73]
	v_mul_f64 v[60:61], v[88:89], v[34:35]
	s_waitcnt vmcnt(5)
	v_mul_f64 v[146:147], v[98:99], v[26:27]
	v_fmac_f64_e32 v[68:69], v[74:75], v[6:7]
	v_fma_f64 v[48:49], v[92:93], v[28:29], -v[144:145]
	v_add_f64 v[42:43], v[42:43], v[76:77]
	v_add_f64 v[40:41], v[40:41], v[64:65]
	v_mul_f64 v[0:1], v[92:93], v[30:31]
	;; [unrolled: 7-line block ×6, first 2 shown]
	s_waitcnt vmcnt(0)
	v_mul_f64 v[158:159], v[130:131], v[38:39]
	v_mul_f64 v[160:161], v[128:129], v[38:39]
	v_fmac_f64_e32 v[70:71], v[106:107], v[56:57]
	v_fma_f64 v[90:91], v[124:125], v[44:45], -v[154:155]
	v_add_f64 v[42:43], v[42:43], v[62:63]
	v_add_f64 v[40:41], v[40:41], v[88:89]
	v_mul_f64 v[156:157], v[124:125], v[46:47]
	v_fmac_f64_e32 v[78:79], v[122:123], v[52:53]
	v_fma_f64 v[92:93], v[128:129], v[36:37], -v[158:159]
	v_fmac_f64_e32 v[160:161], v[130:131], v[36:37]
	v_add_f64 v[42:43], v[42:43], v[70:71]
	v_add_f64 v[40:41], v[40:41], v[90:91]
	v_fmac_f64_e32 v[156:157], v[126:127], v[44:45]
	v_add_f64 v[42:43], v[42:43], v[78:79]
	v_add_f64 v[40:41], v[40:41], v[92:93]
	;; [unrolled: 1-line block ×3, first 2 shown]
	v_add_f64 v[92:93], v[162:163], -v[92:93]
	v_add_f64 v[98:99], v[132:133], -v[160:161]
	v_add_f64 v[42:43], v[42:43], v[156:157]
	v_add_f64 v[96:97], v[132:133], v[160:161]
	v_mul_f64 v[100:101], v[98:99], s[16:17]
	v_mul_f64 v[104:105], v[92:93], s[16:17]
	;; [unrolled: 1-line block ×12, first 2 shown]
	v_add_f64 v[42:43], v[42:43], v[160:161]
	v_fma_f64 v[102:103], v[94:95], s[14:15], -v[100:101]
	v_fma_f64 v[106:107], s[14:15], v[96:97], v[104:105]
	v_fmac_f64_e32 v[100:101], s[14:15], v[94:95]
	v_fma_f64 v[104:105], v[96:97], s[14:15], -v[104:105]
	v_fma_f64 v[122:123], v[94:95], s[10:11], -v[120:121]
	v_fma_f64 v[126:127], s[10:11], v[96:97], v[124:125]
	v_fmac_f64_e32 v[120:121], s[10:11], v[94:95]
	v_fma_f64 v[124:125], v[96:97], s[10:11], -v[124:125]
	;; [unrolled: 4-line block ×6, first 2 shown]
	v_add_f64 v[96:97], v[136:137], -v[156:157]
	v_add_f64 v[102:103], v[84:85], v[102:103]
	v_add_f64 v[106:107], v[86:87], v[106:107]
	;; [unrolled: 1-line block ×25, first 2 shown]
	v_mul_f64 v[98:99], v[96:97], s[26:27]
	v_add_f64 v[90:91], v[134:135], -v[90:91]
	v_fma_f64 v[134:135], v[92:93], s[10:11], -v[98:99]
	v_add_f64 v[94:95], v[136:137], v[156:157]
	v_add_f64 v[102:103], v[134:135], v[102:103]
	v_mul_f64 v[134:135], v[90:91], s[26:27]
	v_fmac_f64_e32 v[98:99], s[10:11], v[92:93]
	v_add_f64 v[98:99], v[98:99], v[100:101]
	v_fma_f64 v[100:101], v[94:95], s[10:11], -v[134:135]
	v_add_f64 v[100:101], v[100:101], v[104:105]
	v_mul_f64 v[104:105], v[96:97], s[20:21]
	v_fma_f64 v[136:137], s[10:11], v[94:95], v[134:135]
	v_fma_f64 v[134:135], v[92:93], s[18:19], -v[104:105]
	v_add_f64 v[122:123], v[134:135], v[122:123]
	v_mul_f64 v[134:135], v[90:91], s[20:21]
	v_fmac_f64_e32 v[104:105], s[18:19], v[92:93]
	v_add_f64 v[104:105], v[104:105], v[120:121]
	v_fma_f64 v[120:121], v[94:95], s[18:19], -v[134:135]
	v_add_f64 v[120:121], v[120:121], v[124:125]
	v_mul_f64 v[124:125], v[96:97], s[34:35]
	v_add_f64 v[106:107], v[136:137], v[106:107]
	v_fma_f64 v[136:137], s[18:19], v[94:95], v[134:135]
	v_fma_f64 v[134:135], v[92:93], s[30:31], -v[124:125]
	v_add_f64 v[130:131], v[134:135], v[130:131]
	v_mul_f64 v[134:135], v[90:91], s[34:35]
	v_fmac_f64_e32 v[124:125], s[30:31], v[92:93]
	v_add_f64 v[124:125], v[124:125], v[128:129]
	v_fma_f64 v[128:129], v[94:95], s[30:31], -v[134:135]
	v_add_f64 v[126:127], v[136:137], v[126:127]
	v_fma_f64 v[136:137], s[30:31], v[94:95], v[134:135]
	v_add_f64 v[128:129], v[128:129], v[132:133]
	v_mul_f64 v[132:133], v[96:97], s[38:39]
	v_add_f64 v[136:137], v[136:137], v[138:139]
	v_fma_f64 v[134:135], v[92:93], s[22:23], -v[132:133]
	v_mul_f64 v[138:139], v[90:91], s[38:39]
	v_fmac_f64_e32 v[132:133], s[22:23], v[92:93]
	v_add_f64 v[134:135], v[134:135], v[142:143]
	v_fma_f64 v[142:143], s[22:23], v[94:95], v[138:139]
	v_add_f64 v[132:133], v[132:133], v[140:141]
	v_fma_f64 v[138:139], v[94:95], s[22:23], -v[138:139]
	v_mul_f64 v[140:141], v[96:97], s[28:29]
	v_add_f64 v[142:143], v[142:143], v[146:147]
	v_add_f64 v[138:139], v[138:139], v[144:145]
	v_fma_f64 v[144:145], v[92:93], s[0:1], -v[140:141]
	v_mul_f64 v[146:147], v[90:91], s[28:29]
	s_mov_b32 s17, 0x3fddbe06
	v_add_f64 v[144:145], v[144:145], v[150:151]
	v_fma_f64 v[150:151], s[0:1], v[94:95], v[146:147]
	v_fmac_f64_e32 v[140:141], s[0:1], v[92:93]
	v_fma_f64 v[146:147], v[94:95], s[0:1], -v[146:147]
	v_mul_f64 v[96:97], v[96:97], s[16:17]
	v_mul_f64 v[90:91], v[90:91], s[16:17]
	v_add_f64 v[140:141], v[140:141], v[148:149]
	v_add_f64 v[146:147], v[146:147], v[152:153]
	v_fma_f64 v[148:149], v[92:93], s[14:15], -v[96:97]
	v_fma_f64 v[152:153], s[14:15], v[94:95], v[90:91]
	v_fmac_f64_e32 v[96:97], s[14:15], v[92:93]
	v_fma_f64 v[90:91], v[94:95], s[14:15], -v[90:91]
	v_add_f64 v[92:93], v[76:77], v[78:79]
	v_add_f64 v[76:77], v[76:77], -v[78:79]
	v_add_f64 v[86:87], v[90:91], v[86:87]
	v_add_f64 v[90:91], v[80:81], v[88:89]
	v_add_f64 v[80:81], v[80:81], -v[88:89]
	v_mul_f64 v[78:79], v[76:77], s[36:37]
	v_fma_f64 v[88:89], v[90:91], s[0:1], -v[78:79]
	v_mul_f64 v[94:95], v[80:81], s[36:37]
	v_fmac_f64_e32 v[78:79], s[0:1], v[90:91]
	v_add_f64 v[84:85], v[96:97], v[84:85]
	v_fma_f64 v[96:97], s[0:1], v[92:93], v[94:95]
	v_add_f64 v[78:79], v[78:79], v[98:99]
	v_fma_f64 v[94:95], v[92:93], s[0:1], -v[94:95]
	v_mul_f64 v[98:99], v[76:77], s[34:35]
	v_add_f64 v[88:89], v[88:89], v[102:103]
	v_add_f64 v[94:95], v[94:95], v[100:101]
	v_fma_f64 v[100:101], v[90:91], s[30:31], -v[98:99]
	v_mul_f64 v[102:103], v[80:81], s[34:35]
	v_fmac_f64_e32 v[98:99], s[30:31], v[90:91]
	v_add_f64 v[96:97], v[96:97], v[106:107]
	v_fma_f64 v[106:107], s[30:31], v[92:93], v[102:103]
	v_add_f64 v[98:99], v[98:99], v[104:105]
	v_fma_f64 v[102:103], v[92:93], s[30:31], -v[102:103]
	v_mul_f64 v[104:105], v[76:77], s[40:41]
	v_add_f64 v[100:101], v[100:101], v[122:123]
	v_add_f64 v[102:103], v[102:103], v[120:121]
	;; [unrolled: 10-line block ×4, first 2 shown]
	v_fma_f64 v[136:137], v[90:91], s[10:11], -v[132:133]
	v_mul_f64 v[138:139], v[80:81], s[26:27]
	v_mul_f64 v[80:81], v[80:81], s[24:25]
	v_add_f64 v[136:137], v[136:137], v[144:145]
	v_fmac_f64_e32 v[132:133], s[10:11], v[90:91]
	v_mul_f64 v[76:77], v[76:77], s[24:25]
	v_fma_f64 v[144:145], s[22:23], v[92:93], v[80:81]
	v_fma_f64 v[80:81], v[92:93], s[22:23], -v[80:81]
	v_add_f64 v[132:133], v[132:133], v[140:141]
	v_fma_f64 v[140:141], v[90:91], s[22:23], -v[76:77]
	v_fmac_f64_e32 v[76:77], s[22:23], v[90:91]
	v_add_f64 v[80:81], v[80:81], v[86:87]
	v_add_f64 v[86:87], v[68:69], v[70:71]
	v_add_f64 v[68:69], v[68:69], -v[70:71]
	v_add_f64 v[76:77], v[76:77], v[84:85]
	v_add_f64 v[84:85], v[72:73], v[74:75]
	v_mul_f64 v[70:71], v[68:69], s[20:21]
	v_add_f64 v[72:73], v[72:73], -v[74:75]
	v_fma_f64 v[74:75], v[84:85], s[18:19], -v[70:71]
	v_add_f64 v[74:75], v[74:75], v[88:89]
	v_mul_f64 v[88:89], v[72:73], s[20:21]
	v_fmac_f64_e32 v[70:71], s[18:19], v[84:85]
	v_fma_f64 v[90:91], s[18:19], v[86:87], v[88:89]
	v_add_f64 v[70:71], v[70:71], v[78:79]
	v_fma_f64 v[78:79], v[86:87], s[18:19], -v[88:89]
	v_mul_f64 v[88:89], v[68:69], s[38:39]
	v_add_f64 v[134:135], v[134:135], v[142:143]
	v_fma_f64 v[142:143], s[10:11], v[92:93], v[138:139]
	v_fma_f64 v[138:139], v[92:93], s[10:11], -v[138:139]
	v_add_f64 v[78:79], v[78:79], v[94:95]
	v_fma_f64 v[92:93], v[84:85], s[22:23], -v[88:89]
	v_mul_f64 v[94:95], v[72:73], s[38:39]
	v_fmac_f64_e32 v[88:89], s[22:23], v[84:85]
	v_add_f64 v[90:91], v[90:91], v[96:97]
	v_fma_f64 v[96:97], s[22:23], v[86:87], v[94:95]
	v_add_f64 v[88:89], v[88:89], v[98:99]
	v_fma_f64 v[94:95], v[86:87], s[22:23], -v[94:95]
	v_mul_f64 v[98:99], v[68:69], s[16:17]
	v_add_f64 v[92:93], v[92:93], v[100:101]
	v_add_f64 v[94:95], v[94:95], v[102:103]
	v_fma_f64 v[100:101], v[84:85], s[14:15], -v[98:99]
	v_mul_f64 v[102:103], v[72:73], s[16:17]
	v_fmac_f64_e32 v[98:99], s[14:15], v[84:85]
	v_add_f64 v[96:97], v[96:97], v[106:107]
	v_fma_f64 v[106:107], s[14:15], v[86:87], v[102:103]
	v_add_f64 v[98:99], v[98:99], v[104:105]
	v_fma_f64 v[102:103], v[86:87], s[14:15], -v[102:103]
	v_mul_f64 v[104:105], v[68:69], s[36:37]
	v_add_f64 v[100:101], v[100:101], v[120:121]
	v_add_f64 v[102:103], v[102:103], v[122:123]
	v_fma_f64 v[120:121], v[84:85], s[0:1], -v[104:105]
	v_mul_f64 v[122:123], v[72:73], s[36:37]
	v_fmac_f64_e32 v[104:105], s[0:1], v[84:85]
	s_mov_b32 s39, 0x3fcea1e5
	s_mov_b32 s38, s34
	v_add_f64 v[106:107], v[106:107], v[126:127]
	v_fma_f64 v[126:127], s[0:1], v[86:87], v[122:123]
	v_add_f64 v[104:105], v[104:105], v[124:125]
	v_fma_f64 v[122:123], v[86:87], s[0:1], -v[122:123]
	v_mul_f64 v[124:125], v[68:69], s[38:39]
	s_mov_b32 s37, 0x3fea55e2
	s_mov_b32 s36, s26
	v_add_f64 v[120:121], v[120:121], v[128:129]
	v_add_f64 v[122:123], v[122:123], v[130:131]
	v_fma_f64 v[128:129], v[84:85], s[30:31], -v[124:125]
	v_mul_f64 v[130:131], v[72:73], s[38:39]
	v_mul_f64 v[72:73], v[72:73], s[36:37]
	v_add_f64 v[128:129], v[128:129], v[136:137]
	v_fmac_f64_e32 v[124:125], s[30:31], v[84:85]
	v_mul_f64 v[68:69], v[68:69], s[36:37]
	v_fma_f64 v[136:137], s[10:11], v[86:87], v[72:73]
	v_fma_f64 v[72:73], v[86:87], s[10:11], -v[72:73]
	v_add_f64 v[124:125], v[124:125], v[132:133]
	v_fma_f64 v[132:133], v[84:85], s[10:11], -v[68:69]
	v_fmac_f64_e32 v[68:69], s[10:11], v[84:85]
	v_add_f64 v[72:73], v[72:73], v[80:81]
	v_add_f64 v[80:81], v[60:61], v[62:63]
	v_add_f64 v[60:61], v[60:61], -v[62:63]
	v_add_f64 v[68:69], v[68:69], v[76:77]
	v_add_f64 v[76:77], v[64:65], v[66:67]
	v_mul_f64 v[62:63], v[60:61], s[24:25]
	v_add_f64 v[64:65], v[64:65], -v[66:67]
	v_fma_f64 v[66:67], v[76:77], s[22:23], -v[62:63]
	v_add_f64 v[66:67], v[66:67], v[74:75]
	v_mul_f64 v[74:75], v[64:65], s[24:25]
	v_fmac_f64_e32 v[62:63], s[22:23], v[76:77]
	v_fma_f64 v[84:85], s[22:23], v[80:81], v[74:75]
	v_add_f64 v[62:63], v[62:63], v[70:71]
	v_fma_f64 v[70:71], v[80:81], s[22:23], -v[74:75]
	v_mul_f64 v[74:75], v[60:61], s[28:29]
	v_add_f64 v[70:71], v[70:71], v[78:79]
	v_fma_f64 v[78:79], v[76:77], s[0:1], -v[74:75]
	v_fmac_f64_e32 v[74:75], s[0:1], v[76:77]
	v_add_f64 v[74:75], v[74:75], v[88:89]
	v_mul_f64 v[88:89], v[60:61], s[26:27]
	v_add_f64 v[126:127], v[126:127], v[134:135]
	v_fma_f64 v[134:135], s[30:31], v[86:87], v[130:131]
	v_fma_f64 v[130:131], v[86:87], s[30:31], -v[130:131]
	v_add_f64 v[78:79], v[78:79], v[92:93]
	v_mul_f64 v[86:87], v[64:65], s[28:29]
	v_fma_f64 v[92:93], v[76:77], s[10:11], -v[88:89]
	v_fmac_f64_e32 v[88:89], s[10:11], v[76:77]
	v_add_f64 v[84:85], v[84:85], v[90:91]
	v_fma_f64 v[90:91], s[0:1], v[80:81], v[86:87]
	v_fma_f64 v[86:87], v[80:81], s[0:1], -v[86:87]
	v_add_f64 v[88:89], v[88:89], v[98:99]
	v_mul_f64 v[98:99], v[60:61], s[38:39]
	v_add_f64 v[86:87], v[86:87], v[94:95]
	v_add_f64 v[92:93], v[92:93], v[100:101]
	v_mul_f64 v[94:95], v[64:65], s[26:27]
	v_fma_f64 v[100:101], v[76:77], s[30:31], -v[98:99]
	v_fmac_f64_e32 v[98:99], s[30:31], v[76:77]
	v_add_f64 v[90:91], v[90:91], v[96:97]
	v_fma_f64 v[96:97], s[10:11], v[80:81], v[94:95]
	v_fma_f64 v[94:95], v[80:81], s[10:11], -v[94:95]
	v_add_f64 v[98:99], v[98:99], v[104:105]
	v_mul_f64 v[104:105], v[60:61], s[16:17]
	v_add_f64 v[138:139], v[138:139], v[146:147]
	v_add_f64 v[94:95], v[94:95], v[102:103]
	;; [unrolled: 1-line block ×3, first 2 shown]
	v_mul_f64 v[102:103], v[64:65], s[38:39]
	v_fma_f64 v[120:121], v[76:77], s[14:15], -v[104:105]
	v_add_f64 v[150:151], v[150:151], v[154:155]
	v_add_f64 v[148:149], v[148:149], v[158:159]
	;; [unrolled: 1-line block ×4, first 2 shown]
	v_fma_f64 v[106:107], s[30:31], v[80:81], v[102:103]
	v_fma_f64 v[102:103], v[80:81], s[30:31], -v[102:103]
	v_add_f64 v[138:139], v[120:121], v[128:129]
	v_mul_f64 v[120:121], v[64:65], s[16:17]
	v_add_f64 v[152:153], v[152:153], v[160:161]
	v_add_f64 v[142:143], v[142:143], v[150:151]
	;; [unrolled: 1-line block ×4, first 2 shown]
	v_fma_f64 v[122:123], s[14:15], v[80:81], v[120:121]
	v_fma_f64 v[120:121], v[80:81], s[14:15], -v[120:121]
	v_mul_f64 v[60:61], v[60:61], s[20:21]
	v_add_f64 v[144:145], v[144:145], v[152:153]
	v_add_f64 v[134:135], v[134:135], v[142:143]
	;; [unrolled: 1-line block ×3, first 2 shown]
	v_fmac_f64_e32 v[104:105], s[14:15], v[76:77]
	v_add_f64 v[142:143], v[120:121], v[130:131]
	v_fma_f64 v[120:121], v[76:77], s[18:19], -v[60:61]
	v_mul_f64 v[64:65], v[64:65], s[20:21]
	v_fmac_f64_e32 v[60:61], s[18:19], v[76:77]
	v_add_f64 v[76:77], v[0:1], -v[2:3]
	v_add_f64 v[136:137], v[136:137], v[144:145]
	v_add_f64 v[144:145], v[120:121], v[132:133]
	v_fma_f64 v[120:121], s[18:19], v[80:81], v[64:65]
	v_add_f64 v[146:147], v[60:61], v[68:69]
	v_fma_f64 v[60:61], v[80:81], s[18:19], -v[64:65]
	v_add_f64 v[80:81], v[48:49], v[50:51]
	v_add_f64 v[150:151], v[48:49], -v[50:51]
	v_mul_f64 v[48:49], v[76:77], s[34:35]
	v_add_f64 v[148:149], v[0:1], v[2:3]
	v_fma_f64 v[0:1], v[80:81], s[30:31], -v[48:49]
	v_mul_f64 v[50:51], v[150:151], s[34:35]
	v_fmac_f64_e32 v[48:49], s[30:31], v[80:81]
	v_add_f64 v[136:137], v[120:121], v[136:137]
	v_add_f64 v[72:73], v[60:61], v[72:73]
	;; [unrolled: 1-line block ×3, first 2 shown]
	v_fma_f64 v[48:49], v[148:149], s[30:31], -v[50:51]
	v_mul_f64 v[60:61], v[76:77], s[16:17]
	v_add_f64 v[140:141], v[122:123], v[134:135]
	v_add_f64 v[122:123], v[48:49], v[70:71]
	v_fma_f64 v[48:49], v[80:81], s[14:15], -v[60:61]
	v_mul_f64 v[62:63], v[150:151], s[16:17]
	v_fmac_f64_e32 v[60:61], s[14:15], v[80:81]
	v_add_f64 v[104:105], v[104:105], v[124:125]
	v_add_f64 v[124:125], v[60:61], v[74:75]
	v_fma_f64 v[60:61], v[148:149], s[14:15], -v[62:63]
	v_mul_f64 v[64:65], v[76:77], s[24:25]
	v_add_f64 v[106:107], v[106:107], v[126:127]
	v_add_f64 v[0:1], v[0:1], v[66:67]
	;; [unrolled: 1-line block ×3, first 2 shown]
	v_fma_f64 v[60:61], v[80:81], s[22:23], -v[64:65]
	v_mul_f64 v[66:67], v[150:151], s[24:25]
	v_fmac_f64_e32 v[64:65], s[22:23], v[80:81]
	v_add_f64 v[128:129], v[64:65], v[88:89]
	v_fma_f64 v[64:65], v[148:149], s[22:23], -v[66:67]
	v_mul_f64 v[68:69], v[76:77], s[36:37]
	v_add_f64 v[130:131], v[64:65], v[94:95]
	v_fma_f64 v[64:65], v[80:81], s[10:11], -v[68:69]
	v_mul_f64 v[70:71], v[150:151], s[36:37]
	v_fmac_f64_e32 v[68:69], s[10:11], v[80:81]
	v_add_f64 v[48:49], v[48:49], v[78:79]
	v_add_f64 v[132:133], v[68:69], v[98:99]
	v_fma_f64 v[68:69], v[148:149], s[10:11], -v[70:71]
	v_mul_f64 v[74:75], v[76:77], s[20:21]
	v_mul_f64 v[78:79], v[150:151], s[20:21]
	v_fma_f64 v[2:3], s[30:31], v[148:149], v[50:51]
	v_fma_f64 v[50:51], s[14:15], v[148:149], v[62:63]
	;; [unrolled: 1-line block ×4, first 2 shown]
	v_add_f64 v[134:135], v[68:69], v[102:103]
	v_fma_f64 v[68:69], v[80:81], s[18:19], -v[74:75]
	v_fma_f64 v[70:71], s[18:19], v[148:149], v[78:79]
	v_fmac_f64_e32 v[74:75], s[18:19], v[80:81]
	v_add_f64 v[70:71], v[70:71], v[140:141]
	v_add_f64 v[140:141], v[74:75], v[104:105]
	v_fma_f64 v[74:75], v[148:149], s[18:19], -v[78:79]
	v_add_f64 v[142:143], v[74:75], v[142:143]
	v_mul_f64 v[74:75], v[76:77], s[28:29]
	v_fma_f64 v[76:77], v[80:81], s[0:1], -v[74:75]
	v_mul_f64 v[86:87], v[150:151], s[28:29]
	v_fmac_f64_e32 v[74:75], s[0:1], v[80:81]
	v_add_f64 v[2:3], v[2:3], v[84:85]
	v_add_f64 v[84:85], v[74:75], v[146:147]
	v_fma_f64 v[74:75], v[148:149], s[0:1], -v[86:87]
	v_fma_f64 v[78:79], s[0:1], v[148:149], v[86:87]
	v_add_f64 v[86:87], v[74:75], v[72:73]
	v_add_lshl_u32 v74, v4, v83, 4
	v_add_f64 v[50:51], v[50:51], v[90:91]
	v_add_f64 v[60:61], v[60:61], v[92:93]
	;; [unrolled: 1-line block ×8, first 2 shown]
	ds_write_b128 v74, v[40:43]
	ds_write_b128 v74, v[0:3] offset:272
	ds_write_b128 v74, v[48:51] offset:544
	;; [unrolled: 1-line block ×12, first 2 shown]
	s_waitcnt lgkmcnt(0)
	s_barrier
	ds_read_b128 v[136:139], v220
	ds_read_b128 v[168:171], v220 offset:3536
	ds_read_b128 v[164:167], v220 offset:7072
	;; [unrolled: 1-line block ×7, first 2 shown]
	s_movk_i32 s0, 0x55
	v_cmp_gt_u16_e64 s[0:1], s0, v202
	s_and_saveexec_b64 s[10:11], s[0:1]
	s_cbranch_execz .LBB0_9
; %bb.8:
	ds_read_b128 v[140:143], v220 offset:2176
	ds_read_b128 v[132:135], v220 offset:5712
	;; [unrolled: 1-line block ×8, first 2 shown]
.LBB0_9:
	s_or_b64 exec, exec, s[10:11]
	s_movk_i32 s10, 0x70
	v_mov_b64_e32 v[0:1], s[2:3]
	v_mad_u64_u32 v[0:1], s[10:11], v202, s10, v[0:1]
	global_load_dwordx4 v[92:95], v[0:1], off offset:3264
	global_load_dwordx4 v[88:91], v[0:1], off offset:3280
	;; [unrolled: 1-line block ×7, first 2 shown]
	v_add_u32_e32 v0, 0x88, v202
	v_add_u32_e32 v1, 0xffffffab, v202
	v_cndmask_b32_e64 v0, v1, v0, s[0:1]
	v_mul_hi_i32_i24_e32 v1, 0x70, v0
	v_mul_i32_i24_e32 v0, 0x70, v0
	v_lshl_add_u64 v[0:1], s[2:3], 0, v[0:1]
	global_load_dwordx4 v[176:179], v[0:1], off offset:3264
	global_load_dwordx4 v[172:175], v[0:1], off offset:3280
	global_load_dwordx4 v[180:183], v[0:1], off offset:3296
	global_load_dwordx4 v[214:217], v[0:1], off offset:3312
	global_load_dwordx4 v[188:191], v[0:1], off offset:3328
	global_load_dwordx4 v[184:187], v[0:1], off offset:3344
	global_load_dwordx4 v[192:195], v[0:1], off offset:3360
	s_mov_b32 s2, 0x667f3bcd
	s_mov_b32 s3, 0xbfe6a09e
	;; [unrolled: 1-line block ×4, first 2 shown]
	s_waitcnt vmcnt(13) lgkmcnt(6)
	v_mul_f64 v[0:1], v[170:171], v[94:95]
	v_mul_f64 v[2:3], v[168:169], v[94:95]
	s_waitcnt vmcnt(12) lgkmcnt(5)
	v_mul_f64 v[40:41], v[166:167], v[90:91]
	v_mul_f64 v[42:43], v[164:165], v[90:91]
	;; [unrolled: 3-line block ×7, first 2 shown]
	v_fma_f64 v[0:1], v[168:169], v[92:93], -v[0:1]
	v_fmac_f64_e32 v[2:3], v[170:171], v[92:93]
	v_fma_f64 v[40:41], v[164:165], v[88:89], -v[40:41]
	v_fmac_f64_e32 v[42:43], v[166:167], v[88:89]
	;; [unrolled: 2-line block ×7, first 2 shown]
	s_waitcnt vmcnt(0)
	v_mul_f64 v[166:167], v[110:111], v[194:195]
	v_mul_f64 v[168:169], v[108:109], v[194:195]
	v_add_f64 v[60:61], v[136:137], -v[60:61]
	v_add_f64 v[62:63], v[138:139], -v[62:63]
	v_add_f64 v[68:69], v[40:41], -v[68:69]
	v_add_f64 v[70:71], v[42:43], -v[70:71]
	v_add_f64 v[64:65], v[0:1], -v[64:65]
	v_add_f64 v[66:67], v[2:3], -v[66:67]
	v_add_f64 v[72:73], v[48:49], -v[72:73]
	v_add_f64 v[76:77], v[50:51], -v[76:77]
	v_fma_f64 v[166:167], v[108:109], v[192:193], -v[166:167]
	v_fmac_f64_e32 v[168:169], v[110:111], v[192:193]
	v_fma_f64 v[108:109], v[136:137], 2.0, -v[60:61]
	v_fma_f64 v[110:111], v[138:139], 2.0, -v[62:63]
	;; [unrolled: 1-line block ×8, first 2 shown]
	v_add_f64 v[70:71], v[60:61], -v[70:71]
	v_add_f64 v[68:69], v[62:63], v[68:69]
	v_add_f64 v[76:77], v[64:65], -v[76:77]
	v_add_f64 v[72:73], v[66:67], v[72:73]
	v_mul_f64 v[78:79], v[134:135], v[178:179]
	v_mul_f64 v[144:145], v[132:133], v[178:179]
	;; [unrolled: 1-line block ×12, first 2 shown]
	v_add_f64 v[40:41], v[108:109], -v[40:41]
	v_add_f64 v[42:43], v[110:111], -v[42:43]
	v_fma_f64 v[60:61], v[60:61], 2.0, -v[70:71]
	v_fma_f64 v[62:63], v[62:63], 2.0, -v[68:69]
	v_add_f64 v[48:49], v[0:1], -v[48:49]
	v_add_f64 v[50:51], v[2:3], -v[50:51]
	v_fma_f64 v[64:65], v[64:65], 2.0, -v[76:77]
	v_fma_f64 v[66:67], v[66:67], 2.0, -v[72:73]
	v_fma_f64 v[78:79], v[132:133], v[176:177], -v[78:79]
	v_fmac_f64_e32 v[144:145], v[134:135], v[176:177]
	v_fma_f64 v[146:147], v[128:129], v[172:173], -v[146:147]
	v_fmac_f64_e32 v[148:149], v[130:131], v[172:173]
	;; [unrolled: 2-line block ×6, first 2 shown]
	v_fma_f64 v[108:109], v[108:109], 2.0, -v[40:41]
	v_fma_f64 v[110:111], v[110:111], 2.0, -v[42:43]
	;; [unrolled: 1-line block ×4, first 2 shown]
	v_fma_f64 v[124:125], s[2:3], v[64:65], v[60:61]
	v_fma_f64 v[126:127], s[2:3], v[66:67], v[62:63]
	;; [unrolled: 1-line block ×4, first 2 shown]
	v_add_f64 v[112:113], v[108:109], -v[0:1]
	v_add_f64 v[114:115], v[110:111], -v[2:3]
	v_fmac_f64_e32 v[124:125], s[2:3], v[66:67]
	v_fmac_f64_e32 v[126:127], s[10:11], v[64:65]
	v_add_f64 v[132:133], v[40:41], -v[50:51]
	v_add_f64 v[134:135], v[42:43], v[48:49]
	v_fmac_f64_e32 v[136:137], s[2:3], v[72:73]
	v_fmac_f64_e32 v[138:139], s[10:11], v[76:77]
	v_add_f64 v[0:1], v[140:141], -v[154:155]
	v_add_f64 v[2:3], v[142:143], -v[156:157]
	;; [unrolled: 1-line block ×8, first 2 shown]
	v_fma_f64 v[116:117], v[60:61], 2.0, -v[124:125]
	v_fma_f64 v[118:119], v[62:63], 2.0, -v[126:127]
	v_fma_f64 v[120:121], v[40:41], 2.0, -v[132:133]
	v_fma_f64 v[122:123], v[42:43], 2.0, -v[134:135]
	v_fma_f64 v[128:129], v[70:71], 2.0, -v[136:137]
	v_fma_f64 v[130:131], v[68:69], 2.0, -v[138:139]
	v_fma_f64 v[40:41], v[140:141], 2.0, -v[0:1]
	v_fma_f64 v[42:43], v[142:143], 2.0, -v[2:3]
	v_fma_f64 v[60:61], v[146:147], 2.0, -v[48:49]
	v_fma_f64 v[62:63], v[148:149], 2.0, -v[50:51]
	v_fma_f64 v[68:69], v[78:79], 2.0, -v[64:65]
	v_fma_f64 v[70:71], v[144:145], 2.0, -v[66:67]
	v_fma_f64 v[78:79], v[150:151], 2.0, -v[72:73]
	v_fma_f64 v[140:141], v[152:153], 2.0, -v[76:77]
	v_add_f64 v[50:51], v[0:1], -v[50:51]
	v_add_f64 v[48:49], v[2:3], v[48:49]
	v_add_f64 v[76:77], v[64:65], -v[76:77]
	v_add_f64 v[72:73], v[66:67], v[72:73]
	v_add_f64 v[60:61], v[40:41], -v[60:61]
	v_add_f64 v[62:63], v[42:43], -v[62:63]
	v_fma_f64 v[0:1], v[0:1], 2.0, -v[50:51]
	v_fma_f64 v[2:3], v[2:3], 2.0, -v[48:49]
	v_add_f64 v[78:79], v[68:69], -v[78:79]
	v_add_f64 v[148:149], v[70:71], -v[140:141]
	v_fma_f64 v[64:65], v[64:65], 2.0, -v[76:77]
	v_fma_f64 v[66:67], v[66:67], 2.0, -v[72:73]
	;; [unrolled: 1-line block ×6, first 2 shown]
	v_fma_f64 v[160:161], s[2:3], v[64:65], v[0:1]
	v_fma_f64 v[162:163], s[2:3], v[66:67], v[2:3]
	;; [unrolled: 1-line block ×4, first 2 shown]
	v_accvgpr_write_b32 a26, v176
	v_accvgpr_write_b32 a22, v172
	v_accvgpr_write_b32 a30, v180
	v_accvgpr_write_b32 a38, v188
	v_accvgpr_write_b32 a34, v184
	v_accvgpr_write_b32 a42, v192
	v_add_f64 v[152:153], v[40:41], -v[68:69]
	v_add_f64 v[154:155], v[42:43], -v[70:71]
	v_fmac_f64_e32 v[160:161], s[2:3], v[66:67]
	v_fmac_f64_e32 v[162:163], s[10:11], v[64:65]
	v_add_f64 v[164:165], v[60:61], -v[148:149]
	v_add_f64 v[166:167], v[62:63], v[78:79]
	v_fmac_f64_e32 v[168:169], s[2:3], v[72:73]
	v_fmac_f64_e32 v[170:171], s[10:11], v[76:77]
	v_accvgpr_write_b32 a27, v177
	v_accvgpr_write_b32 a28, v178
	;; [unrolled: 1-line block ×18, first 2 shown]
	v_fma_f64 v[108:109], v[108:109], 2.0, -v[112:113]
	v_fma_f64 v[110:111], v[110:111], 2.0, -v[114:115]
	;; [unrolled: 1-line block ×10, first 2 shown]
	ds_write_b128 v220, v[108:111]
	ds_write_b128 v220, v[116:119] offset:3536
	ds_write_b128 v220, v[120:123] offset:7072
	;; [unrolled: 1-line block ×7, first 2 shown]
	s_and_saveexec_b64 s[2:3], s[0:1]
	s_cbranch_execz .LBB0_11
; %bb.10:
	ds_write_b128 v220, v[140:143] offset:2176
	ds_write_b128 v220, v[144:147] offset:5712
	;; [unrolled: 1-line block ×8, first 2 shown]
.LBB0_11:
	s_or_b64 exec, exec, s[2:3]
	s_waitcnt lgkmcnt(0)
	s_barrier
	s_and_saveexec_b64 s[10:11], vcc
	s_cbranch_execz .LBB0_13
; %bb.12:
	s_add_u32 s14, s8, 0x6e80
	s_addc_u32 s15, s9, 0
	global_load_dwordx4 v[48:51], v220, s[14:15]
	ds_read_b128 v[0:3], v220
	ds_read_b128 v[172:175], v220 offset:26624
	v_mov_b32_e32 v221, 0
	v_lshl_add_u64 v[40:41], s[14:15], 0, v[220:221]
	s_movk_i32 s2, 0x1000
	s_waitcnt vmcnt(0) lgkmcnt(1)
	v_mul_f64 v[42:43], v[2:3], v[50:51]
	v_mul_f64 v[62:63], v[0:1], v[50:51]
	v_fma_f64 v[60:61], v[0:1], v[48:49], -v[42:43]
	v_fmac_f64_e32 v[62:63], v[2:3], v[48:49]
	ds_read_b128 v[0:3], v220 offset:1664
	global_load_dwordx4 v[48:51], v220, s[14:15] offset:1664
	ds_write_b128 v220, v[60:63]
	s_waitcnt vmcnt(0) lgkmcnt(1)
	v_mul_f64 v[42:43], v[2:3], v[50:51]
	v_mul_f64 v[62:63], v[0:1], v[50:51]
	v_fma_f64 v[60:61], v[0:1], v[48:49], -v[42:43]
	v_fmac_f64_e32 v[62:63], v[2:3], v[48:49]
	ds_read_b128 v[0:3], v220 offset:3328
	global_load_dwordx4 v[48:51], v220, s[14:15] offset:3328
	ds_write_b128 v220, v[60:63] offset:1664
	s_waitcnt vmcnt(0) lgkmcnt(1)
	v_mul_f64 v[42:43], v[2:3], v[50:51]
	v_fma_f64 v[60:61], v[0:1], v[48:49], -v[42:43]
	v_add_co_u32_e64 v42, s[2:3], s2, v40
	v_mul_f64 v[62:63], v[0:1], v[50:51]
	s_nop 0
	v_addc_co_u32_e64 v43, s[2:3], 0, v41, s[2:3]
	v_fmac_f64_e32 v[62:63], v[2:3], v[48:49]
	global_load_dwordx4 v[48:51], v[42:43], off offset:896
	ds_read_b128 v[0:3], v220 offset:4992
	ds_write_b128 v220, v[60:63] offset:3328
	s_movk_i32 s2, 0x2000
	s_waitcnt vmcnt(0) lgkmcnt(1)
	v_mul_f64 v[60:61], v[2:3], v[50:51]
	v_mul_f64 v[62:63], v[0:1], v[50:51]
	v_fma_f64 v[60:61], v[0:1], v[48:49], -v[60:61]
	v_fmac_f64_e32 v[62:63], v[2:3], v[48:49]
	global_load_dwordx4 v[48:51], v[42:43], off offset:2560
	ds_read_b128 v[0:3], v220 offset:6656
	ds_write_b128 v220, v[60:63] offset:4992
	s_waitcnt vmcnt(0) lgkmcnt(1)
	v_mul_f64 v[42:43], v[2:3], v[50:51]
	v_fma_f64 v[60:61], v[0:1], v[48:49], -v[42:43]
	v_add_co_u32_e64 v42, s[2:3], s2, v40
	v_mul_f64 v[62:63], v[0:1], v[50:51]
	s_nop 0
	v_addc_co_u32_e64 v43, s[2:3], 0, v41, s[2:3]
	v_fmac_f64_e32 v[62:63], v[2:3], v[48:49]
	global_load_dwordx4 v[48:51], v[42:43], off offset:128
	ds_read_b128 v[0:3], v220 offset:8320
	ds_write_b128 v220, v[60:63] offset:6656
	s_movk_i32 s2, 0x3000
	s_waitcnt vmcnt(0) lgkmcnt(1)
	v_mul_f64 v[60:61], v[2:3], v[50:51]
	v_mul_f64 v[62:63], v[0:1], v[50:51]
	v_fma_f64 v[60:61], v[0:1], v[48:49], -v[60:61]
	v_fmac_f64_e32 v[62:63], v[2:3], v[48:49]
	global_load_dwordx4 v[48:51], v[42:43], off offset:1792
	ds_read_b128 v[0:3], v220 offset:9984
	ds_write_b128 v220, v[60:63] offset:8320
	s_waitcnt vmcnt(0) lgkmcnt(1)
	v_mul_f64 v[60:61], v[2:3], v[50:51]
	v_mul_f64 v[62:63], v[0:1], v[50:51]
	v_fma_f64 v[60:61], v[0:1], v[48:49], -v[60:61]
	v_fmac_f64_e32 v[62:63], v[2:3], v[48:49]
	global_load_dwordx4 v[48:51], v[42:43], off offset:3456
	ds_read_b128 v[0:3], v220 offset:11648
	ds_write_b128 v220, v[60:63] offset:9984
	s_waitcnt vmcnt(0) lgkmcnt(1)
	v_mul_f64 v[42:43], v[2:3], v[50:51]
	v_fma_f64 v[60:61], v[0:1], v[48:49], -v[42:43]
	v_add_co_u32_e64 v42, s[2:3], s2, v40
	v_mul_f64 v[62:63], v[0:1], v[50:51]
	s_nop 0
	v_addc_co_u32_e64 v43, s[2:3], 0, v41, s[2:3]
	v_fmac_f64_e32 v[62:63], v[2:3], v[48:49]
	global_load_dwordx4 v[48:51], v[42:43], off offset:1024
	ds_read_b128 v[0:3], v220 offset:13312
	ds_write_b128 v220, v[60:63] offset:11648
	s_movk_i32 s2, 0x4000
	s_waitcnt vmcnt(0) lgkmcnt(1)
	v_mul_f64 v[60:61], v[2:3], v[50:51]
	v_mul_f64 v[62:63], v[0:1], v[50:51]
	v_fma_f64 v[60:61], v[0:1], v[48:49], -v[60:61]
	v_fmac_f64_e32 v[62:63], v[2:3], v[48:49]
	global_load_dwordx4 v[48:51], v[42:43], off offset:2688
	ds_read_b128 v[0:3], v220 offset:14976
	ds_write_b128 v220, v[60:63] offset:13312
	s_waitcnt vmcnt(0) lgkmcnt(1)
	v_mul_f64 v[42:43], v[2:3], v[50:51]
	v_fma_f64 v[60:61], v[0:1], v[48:49], -v[42:43]
	v_add_co_u32_e64 v42, s[2:3], s2, v40
	v_mul_f64 v[62:63], v[0:1], v[50:51]
	s_nop 0
	v_addc_co_u32_e64 v43, s[2:3], 0, v41, s[2:3]
	v_fmac_f64_e32 v[62:63], v[2:3], v[48:49]
	global_load_dwordx4 v[48:51], v[42:43], off offset:256
	ds_read_b128 v[0:3], v220 offset:16640
	ds_write_b128 v220, v[60:63] offset:14976
	s_movk_i32 s2, 0x5000
	s_waitcnt vmcnt(0) lgkmcnt(1)
	v_mul_f64 v[60:61], v[2:3], v[50:51]
	v_mul_f64 v[62:63], v[0:1], v[50:51]
	v_fma_f64 v[60:61], v[0:1], v[48:49], -v[60:61]
	v_fmac_f64_e32 v[62:63], v[2:3], v[48:49]
	global_load_dwordx4 v[48:51], v[42:43], off offset:1920
	ds_read_b128 v[0:3], v220 offset:18304
	ds_write_b128 v220, v[60:63] offset:16640
	s_waitcnt vmcnt(0) lgkmcnt(1)
	v_mul_f64 v[60:61], v[2:3], v[50:51]
	v_mul_f64 v[62:63], v[0:1], v[50:51]
	v_fma_f64 v[60:61], v[0:1], v[48:49], -v[60:61]
	v_fmac_f64_e32 v[62:63], v[2:3], v[48:49]
	global_load_dwordx4 v[48:51], v[42:43], off offset:3584
	ds_read_b128 v[0:3], v220 offset:19968
	ds_write_b128 v220, v[60:63] offset:18304
	s_waitcnt vmcnt(0) lgkmcnt(1)
	v_mul_f64 v[42:43], v[2:3], v[50:51]
	v_fma_f64 v[60:61], v[0:1], v[48:49], -v[42:43]
	v_add_co_u32_e64 v42, s[2:3], s2, v40
	v_mul_f64 v[62:63], v[0:1], v[50:51]
	s_nop 0
	v_addc_co_u32_e64 v43, s[2:3], 0, v41, s[2:3]
	v_fmac_f64_e32 v[62:63], v[2:3], v[48:49]
	global_load_dwordx4 v[48:51], v[42:43], off offset:1152
	ds_read_b128 v[0:3], v220 offset:21632
	ds_write_b128 v220, v[60:63] offset:19968
	s_movk_i32 s2, 0x6000
	v_add_co_u32_e64 v40, s[2:3], s2, v40
	s_waitcnt vmcnt(0) lgkmcnt(1)
	v_mul_f64 v[60:61], v[2:3], v[50:51]
	v_mul_f64 v[62:63], v[0:1], v[50:51]
	v_fma_f64 v[60:61], v[0:1], v[48:49], -v[60:61]
	v_fmac_f64_e32 v[62:63], v[2:3], v[48:49]
	global_load_dwordx4 v[48:51], v[42:43], off offset:2816
	ds_read_b128 v[0:3], v220 offset:23296
	v_addc_co_u32_e64 v41, s[2:3], 0, v41, s[2:3]
	ds_write_b128 v220, v[60:63] offset:21632
	s_waitcnt vmcnt(0) lgkmcnt(1)
	v_mul_f64 v[42:43], v[2:3], v[50:51]
	v_fma_f64 v[60:61], v[0:1], v[48:49], -v[42:43]
	global_load_dwordx4 v[40:43], v[40:41], off offset:384
	v_mul_f64 v[62:63], v[0:1], v[50:51]
	v_fmac_f64_e32 v[62:63], v[2:3], v[48:49]
	ds_read_b128 v[0:3], v220 offset:24960
	ds_write_b128 v220, v[60:63] offset:23296
	s_waitcnt vmcnt(0) lgkmcnt(1)
	v_mul_f64 v[48:49], v[2:3], v[42:43]
	v_fma_f64 v[48:49], v[0:1], v[40:41], -v[48:49]
	v_mul_f64 v[50:51], v[0:1], v[42:43]
	v_or_b32_e32 v0, 0x6800, v220
	global_load_dwordx4 v[176:179], v0, s[14:15]
	v_fmac_f64_e32 v[50:51], v[2:3], v[40:41]
	ds_write_b128 v220, v[48:51] offset:24960
	s_waitcnt vmcnt(0)
	v_mul_f64 v[0:1], v[174:175], v[178:179]
	v_mul_f64 v[2:3], v[172:173], v[178:179]
	v_fma_f64 v[0:1], v[172:173], v[176:177], -v[0:1]
	v_fmac_f64_e32 v[2:3], v[174:175], v[176:177]
	ds_write_b128 v220, v[0:3] offset:26624
.LBB0_13:
	s_or_b64 exec, exec, s[10:11]
	s_waitcnt lgkmcnt(0)
	s_barrier
	s_and_saveexec_b64 s[2:3], vcc
	s_cbranch_execz .LBB0_15
; %bb.14:
	ds_read_b128 v[108:111], v220
	ds_read_b128 v[116:119], v220 offset:1664
	ds_read_b128 v[120:123], v220 offset:3328
	;; [unrolled: 1-line block ×16, first 2 shown]
.LBB0_15:
	s_or_b64 exec, exec, s[2:3]
	s_mov_b32 s16, 0x2a9d6da3
	s_waitcnt lgkmcnt(0)
	v_add_f64 v[228:229], v[118:119], -v[208:209]
	s_mov_b32 s2, 0x75d4884
	s_mov_b32 s17, 0xbfe58eea
	;; [unrolled: 1-line block ×3, first 2 shown]
	v_add_f64 v[224:225], v[206:207], v[116:117]
	v_add_f64 v[226:227], v[208:209], v[118:119]
	s_mov_b32 s3, 0x3fe7a5f6
	v_mul_f64 v[4:5], v[228:229], s[16:17]
	s_mov_b32 s14, 0x3259b75e
	s_mov_b32 s23, 0xbfefdd0d
	v_add_f64 v[238:239], v[122:123], -v[170:171]
	v_add_f64 v[232:233], v[116:117], -v[206:207]
	v_mul_f64 v[18:19], v[226:227], s[2:3]
	v_fma_f64 v[0:1], v[224:225], s[2:3], -v[4:5]
	s_mov_b32 s15, 0x3fb79ee6
	v_add_f64 v[230:231], v[120:121], v[168:169]
	v_add_f64 v[234:235], v[122:123], v[170:171]
	v_mul_f64 v[68:69], v[238:239], s[22:23]
	v_add_f64 v[0:1], v[108:109], v[0:1]
	v_fma_f64 v[2:3], s[16:17], v[232:233], v[18:19]
	s_mov_b32 s10, 0x2b2883cd
	s_mov_b32 s18, 0x7c9e640b
	v_add_f64 v[244:245], v[120:121], -v[168:169]
	v_mul_f64 v[70:71], v[234:235], s[14:15]
	v_fma_f64 v[60:61], v[230:231], s[14:15], -v[68:69]
	s_mov_b32 s26, 0x6c9a05f6
	v_add_f64 v[2:3], v[110:111], v[2:3]
	s_mov_b32 s11, 0x3fdc86fa
	s_mov_b32 s19, 0xbfeca52d
	v_add_f64 v[0:1], v[60:61], v[0:1]
	v_fma_f64 v[60:61], s[22:23], v[244:245], v[70:71]
	s_mov_b32 s27, 0xbfe9895b
	v_mul_f64 v[78:79], v[228:229], s[18:19]
	v_mul_f64 v[42:43], v[226:227], s[10:11]
	v_add_f64 v[2:3], v[60:61], v[2:3]
	s_mov_b32 s20, 0x6ed5f1bb
	v_mul_f64 v[60:61], v[238:239], s[26:27]
	v_fma_f64 v[40:41], v[224:225], s[10:11], -v[78:79]
	v_accvgpr_write_b32 a10, v42
	s_mov_b32 s21, 0xbfe348c8
	v_accvgpr_write_b32 a46, v60
	v_add_f64 v[40:41], v[108:109], v[40:41]
	v_accvgpr_write_b32 a11, v43
	v_fma_f64 v[42:43], s[18:19], v[232:233], v[42:43]
	v_mul_f64 v[62:63], v[234:235], s[20:21]
	v_accvgpr_write_b32 a47, v61
	v_fma_f64 v[60:61], v[230:231], s[20:21], -v[60:61]
	s_mov_b32 s34, 0xacd6c6b4
	v_add_f64 v[42:43], v[110:111], v[42:43]
	v_mul_f64 v[48:49], v[228:229], s[22:23]
	v_add_f64 v[40:41], v[60:61], v[40:41]
	v_fma_f64 v[60:61], s[26:27], v[244:245], v[62:63]
	s_mov_b32 s35, 0xbfc7851a
	v_mul_f64 v[50:51], v[226:227], s[14:15]
	v_accvgpr_write_b32 a59, v49
	v_add_f64 v[42:43], v[60:61], v[42:43]
	s_mov_b32 s24, 0x7faef3
	v_mul_f64 v[60:61], v[238:239], s[34:35]
	v_accvgpr_write_b32 a58, v48
	v_fma_f64 v[48:49], v[224:225], s[14:15], -v[48:49]
	v_accvgpr_write_b32 a67, v51
	v_accvgpr_write_b32 a48, v62
	s_mov_b32 s25, 0xbfef7484
	v_accvgpr_write_b32 a81, v61
	v_add_f64 v[48:49], v[108:109], v[48:49]
	v_accvgpr_write_b32 a66, v50
	v_fma_f64 v[50:51], s[22:23], v[232:233], v[50:51]
	v_accvgpr_write_b32 a49, v63
	v_mul_f64 v[62:63], v[234:235], s[24:25]
	v_accvgpr_write_b32 a80, v60
	v_fma_f64 v[60:61], v[230:231], s[24:25], -v[60:61]
	v_add_f64 v[250:251], v[130:131], -v[166:167]
	v_add_f64 v[50:51], v[110:111], v[50:51]
	v_add_f64 v[48:49], v[60:61], v[48:49]
	v_accvgpr_write_b32 a87, v63
	v_fma_f64 v[60:61], s[34:35], v[244:245], v[62:63]
	v_add_f64 v[236:237], v[164:165], v[128:129]
	v_add_f64 v[242:243], v[166:167], v[130:131]
	v_mul_f64 v[218:219], v[250:251], s[26:27]
	v_accvgpr_write_b32 a86, v62
	v_add_f64 v[50:51], v[60:61], v[50:51]
	v_add_f64 v[184:185], v[128:129], -v[164:165]
	v_mul_f64 v[62:63], v[242:243], s[20:21]
	v_fma_f64 v[60:61], v[236:237], s[20:21], -v[218:219]
	v_add_f64 v[0:1], v[60:61], v[0:1]
	v_fma_f64 v[60:61], s[26:27], v[184:185], v[62:63]
	s_mov_b32 s49, 0x3fc7851a
	s_mov_b32 s48, s34
	v_add_f64 v[2:3], v[60:61], v[2:3]
	v_mul_f64 v[60:61], v[250:251], s[48:49]
	v_accvgpr_write_b32 a50, v62
	v_accvgpr_write_b32 a12, v60
	;; [unrolled: 1-line block ×3, first 2 shown]
	v_mul_f64 v[62:63], v[242:243], s[24:25]
	v_accvgpr_write_b32 a13, v61
	v_fma_f64 v[60:61], v[236:237], s[24:25], -v[60:61]
	s_mov_b32 s42, 0x923c349f
	v_add_f64 v[40:41], v[60:61], v[40:41]
	v_fma_f64 v[60:61], s[48:49], v[184:185], v[62:63]
	s_mov_b32 s43, 0x3feec746
	v_add_f64 v[42:43], v[60:61], v[42:43]
	s_mov_b32 s28, 0xc61f0d01
	v_mul_f64 v[60:61], v[250:251], s[42:43]
	v_accvgpr_write_b32 a73, v63
	s_mov_b32 s29, 0xbfd183b1
	v_accvgpr_write_b32 a93, v61
	v_accvgpr_write_b32 a72, v62
	v_mul_f64 v[62:63], v[242:243], s[28:29]
	v_accvgpr_write_b32 a92, v60
	v_fma_f64 v[60:61], v[236:237], s[28:29], -v[60:61]
	v_add_f64 v[48:49], v[60:61], v[48:49]
	v_fma_f64 v[60:61], s[42:43], v[184:185], v[62:63]
	v_add_f64 v[240:241], v[114:115], -v[162:163]
	v_add_f64 v[50:51], v[60:61], v[50:51]
	v_mul_f64 v[60:61], v[240:241], s[34:35]
	v_accvgpr_write_b32 a103, v63
	v_add_f64 v[248:249], v[160:161], v[112:113]
	v_add_f64 v[254:255], v[162:163], v[114:115]
	v_accvgpr_write_b32 a52, v60
	v_accvgpr_write_b32 a102, v62
	v_add_f64 v[190:191], v[112:113], -v[160:161]
	v_mul_f64 v[62:63], v[254:255], s[24:25]
	v_accvgpr_write_b32 a53, v61
	v_fma_f64 v[60:61], v[248:249], s[24:25], -v[60:61]
	v_add_f64 v[0:1], v[60:61], v[0:1]
	v_fma_f64 v[60:61], s[34:35], v[190:191], v[62:63]
	v_add_f64 v[2:3], v[60:61], v[2:3]
	v_mul_f64 v[60:61], v[240:241], s[42:43]
	v_accvgpr_write_b32 a54, v62
	v_accvgpr_write_b32 a65, v61
	;; [unrolled: 1-line block ×3, first 2 shown]
	v_mul_f64 v[62:63], v[254:255], s[28:29]
	v_accvgpr_write_b32 a64, v60
	v_fma_f64 v[60:61], v[248:249], s[28:29], -v[60:61]
	s_mov_b32 s44, 0x5d8e7cdc
	v_add_f64 v[40:41], v[60:61], v[40:41]
	v_fma_f64 v[60:61], s[42:43], v[190:191], v[62:63]
	s_mov_b32 s45, 0x3fd71e95
	v_add_f64 v[42:43], v[60:61], v[42:43]
	s_mov_b32 s36, 0x370991
	v_mul_f64 v[60:61], v[240:241], s[44:45]
	v_accvgpr_write_b32 a85, v63
	s_mov_b32 s37, 0x3fedd6d0
	v_accvgpr_write_b32 a105, v61
	v_accvgpr_write_b32 a84, v62
	v_mul_f64 v[62:63], v[254:255], s[36:37]
	v_accvgpr_write_b32 a104, v60
	v_fma_f64 v[60:61], v[248:249], s[36:37], -v[60:61]
	s_mov_b32 s50, 0x4363dd80
	v_add_f64 v[48:49], v[60:61], v[48:49]
	v_fma_f64 v[60:61], s[44:45], v[190:191], v[62:63]
	v_add_f64 v[186:187], v[126:127], -v[154:155]
	s_mov_b32 s51, 0x3fe0d888
	v_add_f64 v[50:51], v[60:61], v[50:51]
	s_mov_b32 s38, 0x910ea3b9
	v_mul_f64 v[60:61], v[186:187], s[50:51]
	v_accvgpr_write_b32 a111, v63
	v_add_f64 v[222:223], v[124:125], v[152:153]
	v_add_f64 v[252:253], v[126:127], v[154:155]
	s_mov_b32 s39, 0xbfeb34fa
	v_accvgpr_write_b32 a56, v60
	v_accvgpr_write_b32 a110, v62
	v_add_f64 v[194:195], v[124:125], -v[152:153]
	v_mul_f64 v[62:63], v[252:253], s[38:39]
	v_accvgpr_write_b32 a57, v61
	v_fma_f64 v[60:61], v[222:223], s[38:39], -v[60:61]
	v_add_f64 v[0:1], v[60:61], v[0:1]
	v_fma_f64 v[60:61], s[50:51], v[194:195], v[62:63]
	s_mov_b32 s55, 0x3fe58eea
	s_mov_b32 s54, s16
	v_add_f64 v[2:3], v[60:61], v[2:3]
	v_mul_f64 v[60:61], v[186:187], s[54:55]
	v_accvgpr_write_b32 a60, v62
	v_accvgpr_write_b32 a91, v61
	;; [unrolled: 1-line block ×3, first 2 shown]
	v_mul_f64 v[62:63], v[252:253], s[2:3]
	v_accvgpr_write_b32 a90, v60
	v_fma_f64 v[60:61], v[222:223], s[2:3], -v[60:61]
	v_add_f64 v[40:41], v[60:61], v[40:41]
	v_fma_f64 v[60:61], s[54:55], v[194:195], v[62:63]
	v_accvgpr_write_b32 a107, v63
	v_add_f64 v[60:61], v[60:61], v[42:43]
	v_mul_f64 v[42:43], v[186:187], s[18:19]
	v_accvgpr_write_b32 a106, v62
	v_mul_f64 v[62:63], v[252:253], s[10:11]
	v_accvgpr_write_b32 a115, v43
	v_accvgpr_write_b32 a114, v42
	v_fma_f64 v[42:43], v[222:223], s[10:11], -v[42:43]
	v_accvgpr_write_b32 a123, v63
	v_add_f64 v[196:197], v[134:135], -v[158:159]
	v_add_f64 v[48:49], v[42:43], v[48:49]
	v_accvgpr_write_b32 a122, v62
	v_fma_f64 v[42:43], s[18:19], v[194:195], v[62:63]
	v_mul_f64 v[62:63], v[196:197], s[42:43]
	v_add_f64 v[188:189], v[156:157], v[132:133]
	v_add_f64 v[246:247], v[158:159], v[134:135]
	v_accvgpr_write_b32 a62, v62
	v_add_f64 v[50:51], v[42:43], v[50:51]
	v_add_f64 v[42:43], v[132:133], -v[156:157]
	v_mul_f64 v[64:65], v[246:247], s[28:29]
	v_accvgpr_write_b32 a63, v63
	v_fma_f64 v[62:63], v[188:189], s[28:29], -v[62:63]
	v_add_f64 v[0:1], v[62:63], v[0:1]
	v_fma_f64 v[62:63], s[42:43], v[42:43], v[64:65]
	s_mov_b32 s41, 0xbfd71e95
	s_mov_b32 s40, s44
	v_add_f64 v[2:3], v[62:63], v[2:3]
	v_mul_f64 v[62:63], v[196:197], s[40:41]
	v_accvgpr_write_b32 a75, v65
	v_accvgpr_write_b32 a97, v63
	;; [unrolled: 1-line block ×3, first 2 shown]
	v_mul_f64 v[64:65], v[246:247], s[36:37]
	v_accvgpr_write_b32 a96, v62
	v_fma_f64 v[62:63], v[188:189], s[36:37], -v[62:63]
	v_add_f64 v[40:41], v[62:63], v[40:41]
	v_fma_f64 v[62:63], s[40:41], v[42:43], v[64:65]
	s_mov_b32 s46, s50
	v_add_f64 v[62:63], v[62:63], v[60:61]
	v_mul_f64 v[60:61], v[196:197], s[46:47]
	v_accvgpr_write_b32 a125, v61
	v_accvgpr_write_b32 a113, v65
	v_mul_f64 v[66:67], v[246:247], s[38:39]
	v_accvgpr_write_b32 a124, v60
	v_fma_f64 v[60:61], v[188:189], s[38:39], -v[60:61]
	v_accvgpr_write_b32 a112, v64
	v_add_f64 v[64:65], v[60:61], v[48:49]
	v_fma_f64 v[48:49], s[46:47], v[42:43], v[66:67]
	v_accvgpr_write_b32 a127, v67
	v_add_f64 v[50:51], v[48:49], v[50:51]
	v_add_f64 v[48:49], v[138:139], -v[150:151]
	s_mov_b32 s52, s18
	v_accvgpr_write_b32 a126, v66
	v_mul_f64 v[66:67], v[48:49], s[52:53]
	v_add_f64 v[192:193], v[136:137], v[148:149]
	v_add_f64 v[198:199], v[138:139], v[150:151]
	v_accvgpr_write_b32 a83, v67
	v_add_f64 v[60:61], v[136:137], -v[148:149]
	v_mul_f64 v[72:73], v[198:199], s[10:11]
	v_accvgpr_write_b32 a82, v66
	v_fma_f64 v[66:67], v[192:193], s[10:11], -v[66:67]
	v_add_f64 v[66:67], v[66:67], v[0:1]
	v_fma_f64 v[0:1], s[52:53], v[60:61], v[72:73]
	v_add_f64 v[2:3], v[0:1], v[2:3]
	v_mul_f64 v[0:1], v[48:49], s[22:23]
	v_accvgpr_write_b32 a109, v1
	v_accvgpr_write_b32 a89, v73
	v_mul_f64 v[76:77], v[198:199], s[14:15]
	v_accvgpr_write_b32 a108, v0
	v_fma_f64 v[0:1], v[192:193], s[14:15], -v[0:1]
	v_accvgpr_write_b32 a88, v72
	v_add_f64 v[72:73], v[0:1], v[40:41]
	v_fma_f64 v[0:1], s[22:23], v[60:61], v[76:77]
	s_mov_b32 s59, 0x3fe9895b
	s_mov_b32 s58, s26
	v_add_f64 v[174:175], v[0:1], v[62:63]
	v_mul_f64 v[0:1], v[48:49], s[58:59]
	v_mul_f64 v[62:63], v[198:199], s[20:21]
	v_fma_f64 v[40:41], v[192:193], s[20:21], -v[0:1]
	v_accvgpr_write_b32 a137, v63
	v_accvgpr_write_b32 a129, v1
	v_add_f64 v[176:177], v[40:41], v[64:65]
	v_accvgpr_write_b32 a136, v62
	v_fma_f64 v[40:41], s[58:59], v[60:61], v[62:63]
	v_add_f64 v[62:63], v[142:143], -v[146:147]
	v_accvgpr_write_b32 a121, v77
	v_accvgpr_write_b32 a128, v0
	v_add_f64 v[178:179], v[40:41], v[50:51]
	v_add_f64 v[40:41], v[140:141], v[144:145]
	;; [unrolled: 1-line block ×3, first 2 shown]
	v_mul_f64 v[0:1], v[62:63], s[44:45]
	v_accvgpr_write_b32 a120, v76
	v_add_f64 v[64:65], v[140:141], -v[144:145]
	v_mul_f64 v[172:173], v[50:51], s[36:37]
	v_fma_f64 v[76:77], v[40:41], s[36:37], -v[0:1]
	v_add_f64 v[180:181], v[76:77], v[66:67]
	v_fma_f64 v[66:67], s[44:45], v[64:65], v[172:173]
	v_add_f64 v[182:183], v[66:67], v[2:3]
	v_mul_f64 v[66:67], v[62:63], s[46:47]
	v_accvgpr_write_b32 a94, v172
	v_mul_f64 v[76:77], v[50:51], s[38:39]
	v_fma_f64 v[2:3], v[40:41], s[38:39], -v[66:67]
	v_accvgpr_write_b32 a95, v173
	v_add_f64 v[172:173], v[2:3], v[72:73]
	v_fma_f64 v[2:3], s[46:47], v[64:65], v[76:77]
	v_add_f64 v[174:175], v[2:3], v[174:175]
	v_mul_f64 v[2:3], v[62:63], s[54:55]
	v_mul_f64 v[72:73], v[50:51], s[2:3]
	v_fma_f64 v[200:201], v[40:41], s[2:3], -v[2:3]
	v_add_f64 v[176:177], v[200:201], v[176:177]
	v_fma_f64 v[200:201], s[54:55], v[64:65], v[72:73]
	v_add_f64 v[178:179], v[200:201], v[178:179]
	s_barrier
	s_and_saveexec_b64 s[30:31], vcc
	s_cbranch_execz .LBB0_17
; %bb.16:
	v_accvgpr_write_b32 a68, v206
	v_accvgpr_write_b32 a69, v207
	;; [unrolled: 1-line block ×4, first 2 shown]
	v_mul_f64 v[206:207], v[232:233], s[34:35]
	v_mov_b32_e32 v75, v202
	v_mul_f64 v[202:203], v[244:245], s[44:45]
	v_fma_f64 v[208:209], s[24:25], v[226:227], v[206:207]
	v_mul_f64 v[200:201], v[184:185], s[46:47]
	v_accvgpr_write_b32 a0, v204
	v_fma_f64 v[204:205], s[36:37], v[234:235], v[202:203]
	v_add_f64 v[208:209], v[110:111], v[208:209]
	v_add_f64 v[204:205], v[204:205], v[208:209]
	v_fma_f64 v[208:209], s[38:39], v[242:243], v[200:201]
	v_add_f64 v[204:205], v[208:209], v[204:205]
	v_mul_f64 v[208:209], v[190:191], s[54:55]
	v_accvgpr_write_b32 a14, v210
	v_accvgpr_write_b32 a15, v211
	;; [unrolled: 1-line block ×4, first 2 shown]
	v_fma_f64 v[210:211], s[2:3], v[254:255], v[208:209]
	v_add_f64 v[204:205], v[210:211], v[204:205]
	v_mul_f64 v[210:211], v[194:195], s[26:27]
	v_fma_f64 v[212:213], s[20:21], v[252:253], v[210:211]
	v_add_f64 v[204:205], v[212:213], v[204:205]
	v_mul_f64 v[212:213], v[42:43], s[52:53]
	v_accvgpr_write_b32 a18, v214
	v_accvgpr_write_b32 a19, v215
	;; [unrolled: 1-line block ×4, first 2 shown]
	v_fma_f64 v[214:215], s[10:11], v[246:247], v[212:213]
	s_mov_b32 s57, 0xbfeec746
	s_mov_b32 s56, s42
	v_add_f64 v[204:205], v[214:215], v[204:205]
	v_mul_f64 v[214:215], v[60:61], s[56:57]
	v_accvgpr_write_b32 a153, v77
	v_accvgpr_write_b32 a152, v76
	v_fma_f64 v[76:77], s[28:29], v[198:199], v[214:215]
	v_add_f64 v[76:77], v[76:77], v[204:205]
	v_mul_f64 v[204:205], v[228:229], s[34:35]
	v_accvgpr_write_b32 a145, v79
	v_accvgpr_write_b32 a130, v218
	;; [unrolled: 1-line block ×3, first 2 shown]
	v_fma_f64 v[78:79], v[224:225], s[24:25], -v[204:205]
	v_accvgpr_write_b32 a131, v219
	v_mul_f64 v[218:219], v[238:239], s[44:45]
	v_add_f64 v[78:79], v[108:109], v[78:79]
	v_fma_f64 v[216:217], v[230:231], s[36:37], -v[218:219]
	v_add_f64 v[78:79], v[216:217], v[78:79]
	v_mul_f64 v[216:217], v[250:251], s[46:47]
	v_accvgpr_write_b32 a147, v67
	v_accvgpr_write_b32 a146, v66
	v_fma_f64 v[66:67], v[236:237], s[38:39], -v[216:217]
	v_add_f64 v[66:67], v[66:67], v[78:79]
	v_mul_f64 v[78:79], v[240:241], s[54:55]
	v_accvgpr_write_b32 a133, v69
	v_accvgpr_write_b32 a132, v68
	;; [unrolled: 5-line block ×5, first 2 shown]
	v_fma_f64 v[70:71], v[192:193], s[28:29], -v[2:3]
	s_mov_b32 s61, 0x3fefdd0d
	s_mov_b32 s60, s22
	v_add_f64 v[0:1], v[70:71], v[0:1]
	v_mul_f64 v[70:71], v[64:65], s[60:61]
	v_accvgpr_write_b32 a161, v73
	v_accvgpr_write_b32 a160, v72
	v_fma_f64 v[72:73], s[14:15], v[50:51], v[70:71]
	v_accvgpr_write_b32 a2, v24
	v_accvgpr_write_b32 a3, v25
	;; [unrolled: 1-line block ×4, first 2 shown]
	v_add_f64 v[26:27], v[72:73], v[76:77]
	v_mul_f64 v[72:73], v[62:63], s[60:61]
	v_fma_f64 v[76:77], v[40:41], s[14:15], -v[72:73]
	v_add_f64 v[24:25], v[76:77], v[0:1]
	v_fma_f64 v[76:77], v[226:227], s[24:25], -v[206:207]
	v_fma_f64 v[0:1], v[234:235], s[36:37], -v[202:203]
	v_add_f64 v[76:77], v[110:111], v[76:77]
	v_add_f64 v[0:1], v[0:1], v[76:77]
	v_fma_f64 v[76:77], v[242:243], s[38:39], -v[200:201]
	v_add_f64 v[0:1], v[76:77], v[0:1]
	v_fma_f64 v[76:77], v[254:255], s[2:3], -v[208:209]
	;; [unrolled: 2-line block ×5, first 2 shown]
	v_fmac_f64_e32 v[204:205], s[24:25], v[224:225]
	v_add_f64 v[0:1], v[76:77], v[0:1]
	v_fmac_f64_e32 v[218:219], s[36:37], v[230:231]
	v_add_f64 v[76:77], v[108:109], v[204:205]
	v_add_f64 v[76:77], v[218:219], v[76:77]
	v_fmac_f64_e32 v[216:217], s[38:39], v[236:237]
	v_add_f64 v[76:77], v[216:217], v[76:77]
	v_fmac_f64_e32 v[78:79], s[2:3], v[248:249]
	v_add_f64 v[76:77], v[78:79], v[76:77]
	v_fmac_f64_e32 v[68:69], s[20:21], v[222:223]
	v_add_f64 v[68:69], v[68:69], v[76:77]
	v_fmac_f64_e32 v[66:67], s[10:11], v[188:189]
	v_add_f64 v[66:67], v[66:67], v[68:69]
	v_fmac_f64_e32 v[2:3], s[28:29], v[192:193]
	v_add_f64 v[2:3], v[2:3], v[66:67]
	v_fma_f64 v[66:67], v[50:51], s[14:15], -v[70:71]
	v_add_f64 v[68:69], v[66:67], v[0:1]
	v_fmac_f64_e32 v[72:73], s[14:15], v[40:41]
	v_add_f64 v[66:67], v[72:73], v[2:3]
	v_accvgpr_write_b32 a101, v69
	v_mul_f64 v[0:1], v[232:233], s[46:47]
	v_accvgpr_write_b32 a100, v68
	v_accvgpr_write_b32 a99, v67
	;; [unrolled: 1-line block ×3, first 2 shown]
	v_fma_f64 v[2:3], s[38:39], v[226:227], v[0:1]
	v_mul_f64 v[66:67], v[244:245], s[52:53]
	v_add_f64 v[2:3], v[110:111], v[2:3]
	v_fma_f64 v[68:69], s[10:11], v[234:235], v[66:67]
	v_add_f64 v[2:3], v[68:69], v[2:3]
	v_mul_f64 v[68:69], v[184:185], s[22:23]
	v_fma_f64 v[70:71], s[14:15], v[242:243], v[68:69]
	v_add_f64 v[2:3], v[70:71], v[2:3]
	v_mul_f64 v[70:71], v[190:191], s[58:59]
	;; [unrolled: 3-line block ×6, first 2 shown]
	v_fma_f64 v[202:203], v[224:225], s[38:39], -v[200:201]
	v_mul_f64 v[204:205], v[238:239], s[52:53]
	v_add_f64 v[202:203], v[108:109], v[202:203]
	v_fma_f64 v[206:207], v[230:231], s[10:11], -v[204:205]
	v_add_f64 v[202:203], v[206:207], v[202:203]
	v_mul_f64 v[206:207], v[250:251], s[22:23]
	v_fma_f64 v[0:1], v[226:227], s[38:39], -v[0:1]
	v_fma_f64 v[208:209], v[236:237], s[14:15], -v[206:207]
	;; [unrolled: 1-line block ×3, first 2 shown]
	v_add_f64 v[0:1], v[110:111], v[0:1]
	v_add_f64 v[202:203], v[208:209], v[202:203]
	v_mul_f64 v[208:209], v[240:241], s[58:59]
	v_add_f64 v[0:1], v[66:67], v[0:1]
	v_fma_f64 v[66:67], v[242:243], s[14:15], -v[68:69]
	v_fma_f64 v[210:211], v[248:249], s[20:21], -v[208:209]
	v_add_f64 v[0:1], v[66:67], v[0:1]
	v_fma_f64 v[66:67], v[254:255], s[20:21], -v[70:71]
	v_add_f64 v[202:203], v[210:211], v[202:203]
	v_mul_f64 v[210:211], v[186:187], s[40:41]
	v_add_f64 v[0:1], v[66:67], v[0:1]
	v_fma_f64 v[66:67], v[252:253], s[36:37], -v[72:73]
	v_fma_f64 v[212:213], v[222:223], s[36:37], -v[210:211]
	v_add_f64 v[0:1], v[66:67], v[0:1]
	v_fma_f64 v[66:67], v[246:247], s[24:25], -v[76:77]
	v_add_f64 v[202:203], v[212:213], v[202:203]
	v_mul_f64 v[212:213], v[196:197], s[34:35]
	v_add_f64 v[0:1], v[66:67], v[0:1]
	v_fma_f64 v[66:67], v[198:199], s[2:3], -v[78:79]
	v_fmac_f64_e32 v[200:201], s[38:39], v[224:225]
	v_fma_f64 v[214:215], v[188:189], s[24:25], -v[212:213]
	v_add_f64 v[0:1], v[66:67], v[0:1]
	v_fmac_f64_e32 v[204:205], s[10:11], v[230:231]
	v_add_f64 v[66:67], v[108:109], v[200:201]
	v_add_f64 v[202:203], v[214:215], v[202:203]
	v_mul_f64 v[214:215], v[48:49], s[54:55]
	v_add_f64 v[66:67], v[204:205], v[66:67]
	v_fmac_f64_e32 v[206:207], s[14:15], v[236:237]
	v_accvgpr_write_b32 a79, v27
	v_fma_f64 v[216:217], v[192:193], s[2:3], -v[214:215]
	v_add_f64 v[66:67], v[206:207], v[66:67]
	v_fmac_f64_e32 v[208:209], s[20:21], v[248:249]
	v_accvgpr_write_b32 a78, v26
	v_accvgpr_write_b32 a77, v25
	;; [unrolled: 1-line block ×3, first 2 shown]
	v_accvgpr_read_b32 v27, a5
	v_add_f64 v[202:203], v[216:217], v[202:203]
	v_mul_f64 v[216:217], v[64:65], s[56:57]
	v_add_f64 v[66:67], v[208:209], v[66:67]
	v_fmac_f64_e32 v[210:211], s[36:37], v[222:223]
	v_accvgpr_read_b32 v26, a4
	v_accvgpr_read_b32 v25, a3
	;; [unrolled: 1-line block ×3, first 2 shown]
	v_fma_f64 v[218:219], s[28:29], v[50:51], v[216:217]
	v_accvgpr_write_b32 a2, v28
	v_add_f64 v[66:67], v[210:211], v[66:67]
	v_fmac_f64_e32 v[212:213], s[24:25], v[188:189]
	v_accvgpr_write_b32 a3, v29
	v_accvgpr_write_b32 a4, v30
	;; [unrolled: 1-line block ×3, first 2 shown]
	v_add_f64 v[30:31], v[218:219], v[2:3]
	v_mul_f64 v[2:3], v[62:63], s[56:57]
	v_add_f64 v[66:67], v[212:213], v[66:67]
	v_fmac_f64_e32 v[214:215], s[2:3], v[192:193]
	v_fma_f64 v[68:69], v[50:51], s[28:29], -v[216:217]
	v_fma_f64 v[218:219], v[40:41], s[28:29], -v[2:3]
	v_add_f64 v[66:67], v[214:215], v[66:67]
	v_add_f64 v[68:69], v[68:69], v[0:1]
	v_fmac_f64_e32 v[2:3], s[28:29], v[40:41]
	v_add_f64 v[66:67], v[2:3], v[66:67]
	v_accvgpr_write_b32 a141, v69
	v_mul_f64 v[0:1], v[232:233], s[26:27]
	v_accvgpr_write_b32 a140, v68
	v_accvgpr_write_b32 a139, v67
	;; [unrolled: 1-line block ×3, first 2 shown]
	v_fma_f64 v[2:3], s[20:21], v[226:227], v[0:1]
	v_mul_f64 v[66:67], v[244:245], s[42:43]
	v_add_f64 v[2:3], v[110:111], v[2:3]
	v_fma_f64 v[68:69], s[28:29], v[234:235], v[66:67]
	v_add_f64 v[2:3], v[68:69], v[2:3]
	v_mul_f64 v[68:69], v[184:185], s[40:41]
	v_fma_f64 v[70:71], s[36:37], v[242:243], v[68:69]
	v_add_f64 v[2:3], v[70:71], v[2:3]
	v_mul_f64 v[70:71], v[190:191], s[46:47]
	;; [unrolled: 3-line block ×4, first 2 shown]
	v_fma_f64 v[0:1], v[226:227], s[20:21], -v[0:1]
	v_fma_f64 v[78:79], s[2:3], v[246:247], v[76:77]
	v_fma_f64 v[66:67], v[234:235], s[28:29], -v[66:67]
	v_add_f64 v[0:1], v[110:111], v[0:1]
	v_add_f64 v[2:3], v[78:79], v[2:3]
	v_mul_f64 v[78:79], v[60:61], s[34:35]
	v_add_f64 v[0:1], v[66:67], v[0:1]
	v_fma_f64 v[66:67], v[242:243], s[36:37], -v[68:69]
	v_fma_f64 v[200:201], s[24:25], v[198:199], v[78:79]
	v_mul_f64 v[204:205], v[228:229], s[26:27]
	v_add_f64 v[0:1], v[66:67], v[0:1]
	v_fma_f64 v[66:67], v[254:255], s[38:39], -v[70:71]
	v_add_f64 v[2:3], v[200:201], v[2:3]
	v_fma_f64 v[200:201], v[224:225], s[20:21], -v[204:205]
	v_mul_f64 v[206:207], v[238:239], s[42:43]
	v_add_f64 v[0:1], v[66:67], v[0:1]
	v_fma_f64 v[66:67], v[252:253], s[14:15], -v[72:73]
	v_add_f64 v[28:29], v[218:219], v[202:203]
	v_add_f64 v[200:201], v[108:109], v[200:201]
	v_fma_f64 v[202:203], v[230:231], s[28:29], -v[206:207]
	v_mul_f64 v[208:209], v[250:251], s[40:41]
	v_add_f64 v[0:1], v[66:67], v[0:1]
	v_fma_f64 v[66:67], v[246:247], s[2:3], -v[76:77]
	v_add_f64 v[200:201], v[202:203], v[200:201]
	v_fma_f64 v[202:203], v[236:237], s[36:37], -v[208:209]
	v_mul_f64 v[210:211], v[240:241], s[46:47]
	v_add_f64 v[0:1], v[66:67], v[0:1]
	v_fma_f64 v[66:67], v[198:199], s[24:25], -v[78:79]
	v_fmac_f64_e32 v[204:205], s[20:21], v[224:225]
	v_add_f64 v[200:201], v[202:203], v[200:201]
	v_fma_f64 v[202:203], v[248:249], s[38:39], -v[210:211]
	v_mul_f64 v[212:213], v[186:187], s[60:61]
	v_add_f64 v[0:1], v[66:67], v[0:1]
	v_fmac_f64_e32 v[206:207], s[28:29], v[230:231]
	v_add_f64 v[66:67], v[108:109], v[204:205]
	v_add_f64 v[200:201], v[202:203], v[200:201]
	v_fma_f64 v[202:203], v[222:223], s[14:15], -v[212:213]
	v_mul_f64 v[214:215], v[196:197], s[16:17]
	v_add_f64 v[66:67], v[206:207], v[66:67]
	v_fmac_f64_e32 v[208:209], s[36:37], v[236:237]
	v_accvgpr_write_b32 a119, v31
	v_add_f64 v[200:201], v[202:203], v[200:201]
	v_fma_f64 v[202:203], v[188:189], s[2:3], -v[214:215]
	v_mul_f64 v[216:217], v[48:49], s[34:35]
	v_add_f64 v[66:67], v[208:209], v[66:67]
	v_fmac_f64_e32 v[210:211], s[38:39], v[248:249]
	v_accvgpr_write_b32 a118, v30
	v_accvgpr_write_b32 a117, v29
	;; [unrolled: 1-line block ×3, first 2 shown]
	v_accvgpr_read_b32 v31, a5
	v_add_f64 v[200:201], v[202:203], v[200:201]
	v_fma_f64 v[202:203], v[192:193], s[24:25], -v[216:217]
	v_mul_f64 v[218:219], v[64:65], s[52:53]
	v_add_f64 v[66:67], v[210:211], v[66:67]
	v_fmac_f64_e32 v[212:213], s[14:15], v[222:223]
	v_accvgpr_read_b32 v30, a4
	v_accvgpr_read_b32 v29, a3
	;; [unrolled: 1-line block ×3, first 2 shown]
	v_add_f64 v[200:201], v[202:203], v[200:201]
	v_fma_f64 v[202:203], s[10:11], v[50:51], v[218:219]
	v_accvgpr_write_b32 a2, v32
	v_add_f64 v[66:67], v[212:213], v[66:67]
	v_fmac_f64_e32 v[214:215], s[2:3], v[188:189]
	v_accvgpr_write_b32 a3, v33
	v_accvgpr_write_b32 a4, v34
	;; [unrolled: 1-line block ×3, first 2 shown]
	v_add_f64 v[34:35], v[202:203], v[2:3]
	v_mul_f64 v[2:3], v[62:63], s[52:53]
	v_add_f64 v[66:67], v[214:215], v[66:67]
	v_fmac_f64_e32 v[216:217], s[24:25], v[192:193]
	v_fma_f64 v[68:69], v[50:51], s[10:11], -v[218:219]
	v_fma_f64 v[202:203], v[40:41], s[10:11], -v[2:3]
	v_add_f64 v[66:67], v[216:217], v[66:67]
	v_add_f64 v[68:69], v[68:69], v[0:1]
	v_fmac_f64_e32 v[2:3], s[10:11], v[40:41]
	v_add_f64 v[66:67], v[2:3], v[66:67]
	v_accvgpr_write_b32 a159, v69
	v_mul_f64 v[0:1], v[232:233], s[56:57]
	v_accvgpr_write_b32 a158, v68
	v_accvgpr_write_b32 a157, v67
	;; [unrolled: 1-line block ×3, first 2 shown]
	v_fma_f64 v[2:3], s[28:29], v[226:227], v[0:1]
	v_mul_f64 v[66:67], v[244:245], s[50:51]
	v_add_f64 v[2:3], v[110:111], v[2:3]
	v_fma_f64 v[68:69], s[38:39], v[234:235], v[66:67]
	v_add_f64 v[2:3], v[68:69], v[2:3]
	v_mul_f64 v[68:69], v[184:185], s[54:55]
	v_fma_f64 v[70:71], s[2:3], v[242:243], v[68:69]
	v_add_f64 v[2:3], v[70:71], v[2:3]
	v_mul_f64 v[70:71], v[190:191], s[18:19]
	;; [unrolled: 3-line block ×5, first 2 shown]
	v_add_f64 v[32:33], v[202:203], v[200:201]
	v_fma_f64 v[200:201], s[36:37], v[198:199], v[78:79]
	v_add_f64 v[2:3], v[200:201], v[2:3]
	v_mul_f64 v[200:201], v[228:229], s[56:57]
	v_fma_f64 v[202:203], v[224:225], s[28:29], -v[200:201]
	v_mul_f64 v[212:213], v[238:239], s[50:51]
	v_add_f64 v[202:203], v[108:109], v[202:203]
	v_fma_f64 v[208:209], v[230:231], s[38:39], -v[212:213]
	v_mul_f64 v[214:215], v[250:251], s[54:55]
	v_accvgpr_write_b32 a151, v35
	v_add_f64 v[202:203], v[208:209], v[202:203]
	v_fma_f64 v[208:209], v[236:237], s[2:3], -v[214:215]
	v_mul_f64 v[216:217], v[240:241], s[18:19]
	v_accvgpr_write_b32 a150, v34
	v_accvgpr_write_b32 a149, v33
	;; [unrolled: 1-line block ×3, first 2 shown]
	v_accvgpr_read_b32 v35, a5
	v_add_f64 v[202:203], v[208:209], v[202:203]
	v_fma_f64 v[208:209], v[248:249], s[10:11], -v[216:217]
	v_mul_f64 v[218:219], v[186:187], s[34:35]
	v_accvgpr_write_b32 a163, v5
	v_accvgpr_read_b32 v34, a4
	v_accvgpr_read_b32 v33, a3
	v_accvgpr_read_b32 v32, a2
	v_add_f64 v[202:203], v[208:209], v[202:203]
	v_fma_f64 v[208:209], v[222:223], s[24:25], -v[218:219]
	v_accvgpr_write_b32 a162, v4
	v_mul_f64 v[4:5], v[196:197], s[60:61]
	v_accvgpr_write_b32 a2, v6
	v_add_f64 v[202:203], v[208:209], v[202:203]
	v_accvgpr_write_b32 a3, v7
	v_accvgpr_write_b32 a4, v8
	;; [unrolled: 1-line block ×3, first 2 shown]
	v_fma_f64 v[6:7], v[188:189], s[14:15], -v[4:5]
	v_mul_f64 v[8:9], v[64:65], s[26:27]
	v_accvgpr_write_b32 a6, v10
	v_add_f64 v[6:7], v[6:7], v[202:203]
	v_mul_f64 v[202:203], v[48:49], s[40:41]
	v_accvgpr_write_b32 a7, v11
	v_accvgpr_write_b32 a8, v12
	;; [unrolled: 1-line block ×3, first 2 shown]
	v_fma_f64 v[10:11], s[20:21], v[50:51], v[8:9]
	v_fma_f64 v[208:209], v[192:193], s[36:37], -v[202:203]
	v_add_f64 v[210:211], v[10:11], v[2:3]
	v_mul_f64 v[2:3], v[62:63], s[26:27]
	v_add_f64 v[6:7], v[208:209], v[6:7]
	v_fma_f64 v[10:11], v[40:41], s[20:21], -v[2:3]
	v_fma_f64 v[0:1], v[226:227], s[28:29], -v[0:1]
	v_add_f64 v[208:209], v[10:11], v[6:7]
	v_fma_f64 v[6:7], v[234:235], s[38:39], -v[66:67]
	v_add_f64 v[0:1], v[110:111], v[0:1]
	v_add_f64 v[0:1], v[6:7], v[0:1]
	v_fma_f64 v[6:7], v[242:243], s[2:3], -v[68:69]
	v_add_f64 v[0:1], v[6:7], v[0:1]
	v_fma_f64 v[6:7], v[254:255], s[10:11], -v[70:71]
	;; [unrolled: 2-line block ×5, first 2 shown]
	v_fmac_f64_e32 v[200:201], s[28:29], v[224:225]
	v_add_f64 v[0:1], v[6:7], v[0:1]
	v_fmac_f64_e32 v[212:213], s[38:39], v[230:231]
	v_add_f64 v[6:7], v[108:109], v[200:201]
	v_add_f64 v[6:7], v[212:213], v[6:7]
	v_fmac_f64_e32 v[214:215], s[2:3], v[236:237]
	v_add_f64 v[6:7], v[214:215], v[6:7]
	v_fmac_f64_e32 v[216:217], s[10:11], v[248:249]
	;; [unrolled: 2-line block ×6, first 2 shown]
	v_fma_f64 v[6:7], v[50:51], s[20:21], -v[8:9]
	v_add_f64 v[212:213], v[2:3], v[4:5]
	v_accvgpr_read_b32 v2, a160
	v_add_f64 v[214:215], v[6:7], v[0:1]
	v_mul_f64 v[0:1], v[64:65], s[54:55]
	v_accvgpr_read_b32 v3, a161
	v_accvgpr_read_b32 v4, a136
	v_add_f64 v[0:1], v[2:3], -v[0:1]
	v_mul_f64 v[2:3], v[60:61], s[58:59]
	v_accvgpr_read_b32 v5, a137
	v_accvgpr_read_b32 v6, a126
	v_add_f64 v[2:3], v[4:5], -v[2:3]
	;; [unrolled: 4-line block ×5, first 2 shown]
	v_mul_f64 v[10:11], v[184:185], s[42:43]
	v_accvgpr_read_b32 v13, a103
	v_add_f64 v[10:11], v[12:13], -v[10:11]
	v_accvgpr_read_b32 v12, a86
	v_mul_f64 v[66:67], v[244:245], s[34:35]
	v_accvgpr_read_b32 v13, a87
	v_add_f64 v[66:67], v[12:13], -v[66:67]
	v_accvgpr_read_b32 v12, a66
	v_mul_f64 v[68:69], v[232:233], s[22:23]
	v_accvgpr_read_b32 v13, a67
	v_add_f64 v[68:69], v[12:13], -v[68:69]
	v_add_f64 v[68:69], v[110:111], v[68:69]
	v_add_f64 v[66:67], v[66:67], v[68:69]
	;; [unrolled: 1-line block ×6, first 2 shown]
	v_accvgpr_read_b32 v6, a154
	v_add_f64 v[2:3], v[2:3], v[4:5]
	v_mul_f64 v[4:5], v[40:41], s[2:3]
	v_accvgpr_read_b32 v7, a155
	v_accvgpr_read_b32 v8, a128
	v_add_f64 v[4:5], v[4:5], v[6:7]
	v_mul_f64 v[6:7], v[192:193], s[20:21]
	v_accvgpr_read_b32 v9, a129
	v_accvgpr_read_b32 v10, a124
	v_add_f64 v[6:7], v[6:7], v[8:9]
	v_mul_f64 v[8:9], v[188:189], s[38:39]
	v_accvgpr_read_b32 v11, a125
	v_accvgpr_read_b32 v12, a114
	v_add_f64 v[8:9], v[8:9], v[10:11]
	v_mul_f64 v[10:11], v[222:223], s[10:11]
	v_accvgpr_read_b32 v13, a115
	v_add_f64 v[10:11], v[10:11], v[12:13]
	v_accvgpr_read_b32 v12, a104
	v_mul_f64 v[66:67], v[248:249], s[36:37]
	v_accvgpr_read_b32 v13, a105
	v_add_f64 v[66:67], v[66:67], v[12:13]
	v_accvgpr_read_b32 v12, a92
	v_mul_f64 v[68:69], v[236:237], s[28:29]
	v_accvgpr_read_b32 v13, a93
	;; [unrolled: 4-line block ×4, first 2 shown]
	v_add_f64 v[72:73], v[72:73], v[12:13]
	v_add_f64 v[72:73], v[108:109], v[72:73]
	;; [unrolled: 1-line block ×9, first 2 shown]
	v_accvgpr_read_b32 v2, a152
	v_add_f64 v[216:217], v[4:5], v[6:7]
	v_mul_f64 v[0:1], v[64:65], s[46:47]
	v_accvgpr_read_b32 v3, a153
	v_accvgpr_read_b32 v6, a120
	v_add_f64 v[0:1], v[2:3], -v[0:1]
	v_mul_f64 v[2:3], v[60:61], s[22:23]
	v_accvgpr_read_b32 v7, a121
	v_accvgpr_read_b32 v10, a112
	v_add_f64 v[2:3], v[6:7], -v[2:3]
	;; [unrolled: 4-line block ×3, first 2 shown]
	v_mul_f64 v[10:11], v[194:195], s[54:55]
	v_accvgpr_read_b32 v13, a107
	v_add_f64 v[10:11], v[12:13], -v[10:11]
	v_accvgpr_read_b32 v12, a84
	v_mul_f64 v[66:67], v[190:191], s[42:43]
	v_accvgpr_read_b32 v13, a85
	v_add_f64 v[66:67], v[12:13], -v[66:67]
	v_accvgpr_read_b32 v12, a72
	;; [unrolled: 4-line block ×4, first 2 shown]
	v_mul_f64 v[72:73], v[232:233], s[18:19]
	v_accvgpr_read_b32 v12, a10
	v_add_f64 v[72:73], v[12:13], -v[72:73]
	v_add_f64 v[72:73], v[110:111], v[72:73]
	v_add_f64 v[70:71], v[70:71], v[72:73]
	;; [unrolled: 1-line block ×6, first 2 shown]
	v_accvgpr_read_b32 v12, a146
	v_add_f64 v[2:3], v[2:3], v[6:7]
	v_mul_f64 v[6:7], v[40:41], s[38:39]
	v_accvgpr_read_b32 v13, a147
	v_add_f64 v[6:7], v[6:7], v[12:13]
	v_accvgpr_read_b32 v12, a108
	v_mul_f64 v[78:79], v[192:193], s[14:15]
	v_accvgpr_read_b32 v13, a109
	v_add_f64 v[78:79], v[78:79], v[12:13]
	v_accvgpr_read_b32 v12, a96
	;; [unrolled: 4-line block ×5, first 2 shown]
	v_accvgpr_read_b32 v13, a13
	v_accvgpr_write_b32 a10, v14
	v_accvgpr_write_b32 a11, v15
	;; [unrolled: 1-line block ×4, first 2 shown]
	v_accvgpr_read_b32 v16, a144
	v_mul_f64 v[76:77], v[224:225], s[10:11]
	v_accvgpr_read_b32 v14, a46
	v_accvgpr_read_b32 v17, a145
	v_mul_f64 v[68:69], v[230:231], s[20:21]
	v_accvgpr_read_b32 v15, a47
	v_add_f64 v[76:77], v[76:77], v[16:17]
	v_accvgpr_write_b32 a49, v23
	v_mul_f64 v[206:207], v[236:237], s[24:25]
	v_add_f64 v[14:15], v[68:69], v[14:15]
	v_accvgpr_write_b32 a48, v22
	v_accvgpr_write_b32 a47, v21
	;; [unrolled: 1-line block ×3, first 2 shown]
	v_mov_b64_e32 v[20:21], v[18:19]
	v_add_f64 v[18:19], v[108:109], v[76:77]
	v_add_f64 v[206:207], v[206:207], v[12:13]
	;; [unrolled: 1-line block ×10, first 2 shown]
	v_accvgpr_read_b32 v14, a94
	v_mul_f64 v[6:7], v[64:65], s[44:45]
	v_accvgpr_read_b32 v15, a95
	v_add_f64 v[6:7], v[14:15], -v[6:7]
	v_accvgpr_read_b32 v14, a88
	v_accvgpr_read_b32 v22, a74
	v_mul_f64 v[204:205], v[42:43], s[42:43]
	v_mul_f64 v[200:201], v[60:61], s[52:53]
	v_accvgpr_read_b32 v15, a89
	v_accvgpr_read_b32 v23, a75
	v_add_f64 v[14:15], v[14:15], -v[200:201]
	v_add_f64 v[200:201], v[22:23], -v[204:205]
	v_accvgpr_read_b32 v22, a60
	v_mul_f64 v[18:19], v[194:195], s[50:51]
	v_accvgpr_read_b32 v23, a61
	v_add_f64 v[18:19], v[22:23], -v[18:19]
	v_accvgpr_read_b32 v22, a54
	v_mul_f64 v[68:69], v[190:191], s[34:35]
	v_accvgpr_read_b32 v23, a55
	;; [unrolled: 4-line block ×3, first 2 shown]
	v_mul_f64 v[4:5], v[232:233], s[16:17]
	v_add_f64 v[10:11], v[22:23], -v[10:11]
	v_accvgpr_read_b32 v22, a142
	v_mul_f64 v[70:71], v[244:245], s[22:23]
	v_accvgpr_read_b32 v23, a143
	v_add_f64 v[4:5], v[20:21], -v[4:5]
	v_add_f64 v[70:71], v[22:23], -v[70:71]
	v_add_f64 v[4:5], v[110:111], v[4:5]
	v_add_f64 v[4:5], v[70:71], v[4:5]
	v_add_f64 v[4:5], v[10:11], v[4:5]
	v_add_f64 v[4:5], v[68:69], v[4:5]
	v_add_f64 v[4:5], v[18:19], v[4:5]
	v_add_f64 v[4:5], v[200:201], v[4:5]
	v_add_f64 v[4:5], v[14:15], v[4:5]
	v_accvgpr_read_b32 v14, a56
	v_mul_f64 v[16:17], v[222:223], s[38:39]
	v_accvgpr_read_b32 v15, a57
	v_add_f64 v[14:15], v[16:17], v[14:15]
	v_accvgpr_read_b32 v16, a52
	v_mul_f64 v[12:13], v[248:249], s[24:25]
	v_accvgpr_read_b32 v17, a53
	v_add_f64 v[12:13], v[12:13], v[16:17]
	v_accvgpr_read_b32 v16, a130
	v_mul_f64 v[66:67], v[236:237], s[20:21]
	v_accvgpr_read_b32 v17, a131
	v_add_f64 v[16:17], v[66:67], v[16:17]
	v_accvgpr_read_b32 v66, a162
	v_mul_f64 v[8:9], v[224:225], s[2:3]
	v_accvgpr_read_b32 v18, a132
	v_accvgpr_read_b32 v67, a163
	v_mul_f64 v[72:73], v[230:231], s[14:15]
	v_accvgpr_read_b32 v19, a133
	v_add_f64 v[8:9], v[8:9], v[66:67]
	v_add_f64 v[18:19], v[72:73], v[18:19]
	;; [unrolled: 1-line block ×5, first 2 shown]
	v_accvgpr_read_b32 v4, a134
	v_accvgpr_read_b32 v10, a62
	v_add_f64 v[8:9], v[16:17], v[8:9]
	v_mul_f64 v[76:77], v[188:189], s[28:29]
	v_mul_f64 v[78:79], v[40:41], s[36:37]
	v_accvgpr_read_b32 v5, a135
	v_accvgpr_read_b32 v6, a82
	;; [unrolled: 1-line block ×3, first 2 shown]
	v_add_f64 v[8:9], v[12:13], v[8:9]
	v_mul_f64 v[202:203], v[192:193], s[10:11]
	v_add_f64 v[4:5], v[78:79], v[4:5]
	v_accvgpr_read_b32 v7, a83
	v_add_f64 v[10:11], v[76:77], v[10:11]
	v_add_f64 v[8:9], v[14:15], v[8:9]
	v_mul_f64 v[78:79], v[232:233], s[40:41]
	v_add_f64 v[6:7], v[202:203], v[6:7]
	v_add_f64 v[8:9], v[10:11], v[8:9]
	v_mul_f64 v[70:71], v[184:185], s[18:19]
	v_mul_f64 v[72:73], v[244:245], s[16:17]
	v_fma_f64 v[184:185], s[36:37], v[226:227], v[78:79]
	v_add_f64 v[6:7], v[6:7], v[8:9]
	v_fma_f64 v[76:77], s[2:3], v[234:235], v[72:73]
	v_add_f64 v[184:185], v[110:111], v[184:185]
	v_add_f64 v[66:67], v[4:5], v[6:7]
	v_mul_f64 v[4:5], v[64:65], s[34:35]
	v_mul_f64 v[12:13], v[42:43], s[26:27]
	;; [unrolled: 1-line block ×3, first 2 shown]
	v_fma_f64 v[64:65], s[10:11], v[242:243], v[70:71]
	v_add_f64 v[76:77], v[76:77], v[184:185]
	v_mul_f64 v[8:9], v[60:61], s[46:47]
	v_mul_f64 v[16:17], v[194:195], s[56:57]
	v_fma_f64 v[60:61], s[14:15], v[254:255], v[42:43]
	v_add_f64 v[64:65], v[64:65], v[76:77]
	v_fma_f64 v[18:19], s[28:29], v[252:253], v[16:17]
	v_add_f64 v[60:61], v[60:61], v[64:65]
	;; [unrolled: 2-line block ×4, first 2 shown]
	v_mul_f64 v[202:203], v[228:229], s[40:41]
	v_add_f64 v[10:11], v[10:11], v[14:15]
	v_mul_f64 v[14:15], v[48:49], s[46:47]
	v_mul_f64 v[48:49], v[196:197], s[26:27]
	;; [unrolled: 1-line block ×3, first 2 shown]
	v_fma_f64 v[204:205], v[224:225], s[36:37], -v[202:203]
	v_mul_f64 v[190:191], v[250:251], s[18:19]
	v_fma_f64 v[200:201], v[230:231], s[2:3], -v[196:197]
	v_add_f64 v[204:205], v[108:109], v[204:205]
	v_mul_f64 v[184:185], v[240:241], s[22:23]
	v_fma_f64 v[194:195], v[236:237], s[10:11], -v[190:191]
	v_add_f64 v[200:201], v[200:201], v[204:205]
	v_fma_f64 v[6:7], s[24:25], v[50:51], v[4:5]
	v_mul_f64 v[76:77], v[186:187], s[56:57]
	v_fma_f64 v[186:187], v[248:249], s[14:15], -v[184:185]
	v_add_f64 v[194:195], v[194:195], v[200:201]
	v_add_f64 v[64:65], v[6:7], v[10:11]
	v_mul_f64 v[6:7], v[62:63], s[34:35]
	v_fma_f64 v[62:63], v[222:223], s[28:29], -v[76:77]
	v_add_f64 v[186:187], v[186:187], v[194:195]
	v_fma_f64 v[60:61], v[188:189], s[20:21], -v[48:49]
	v_add_f64 v[62:63], v[62:63], v[186:187]
	;; [unrolled: 2-line block ×4, first 2 shown]
	v_fma_f64 v[4:5], v[50:51], s[24:25], -v[4:5]
	v_fma_f64 v[50:51], v[226:227], s[36:37], -v[78:79]
	v_add_f64 v[62:63], v[10:11], v[18:19]
	v_fma_f64 v[10:11], v[246:247], s[20:21], -v[12:13]
	v_fma_f64 v[12:13], v[252:253], s[28:29], -v[16:17]
	;; [unrolled: 1-line block ×4, first 2 shown]
	v_add_f64 v[50:51], v[110:111], v[50:51]
	v_fma_f64 v[18:19], v[242:243], s[10:11], -v[70:71]
	v_add_f64 v[42:43], v[42:43], v[50:51]
	v_add_f64 v[18:19], v[18:19], v[42:43]
	;; [unrolled: 1-line block ×4, first 2 shown]
	v_fma_f64 v[8:9], v[198:199], s[38:39], -v[8:9]
	v_add_f64 v[10:11], v[10:11], v[12:13]
	v_add_f64 v[8:9], v[8:9], v[10:11]
	v_fmac_f64_e32 v[202:203], s[36:37], v[224:225]
	v_add_f64 v[42:43], v[4:5], v[8:9]
	v_fmac_f64_e32 v[196:197], s[2:3], v[230:231]
	;; [unrolled: 2-line block ×8, first 2 shown]
	v_add_f64 v[4:5], v[14:15], v[4:5]
	v_add_f64 v[40:41], v[6:7], v[4:5]
	;; [unrolled: 1-line block ×16, first 2 shown]
	v_accvgpr_read_b32 v48, a68
	v_add_f64 v[4:5], v[170:171], v[4:5]
	v_accvgpr_read_b32 v50, a70
	v_accvgpr_read_b32 v51, a71
	v_add_f64 v[50:51], v[50:51], v[4:5]
	v_add_f64 v[4:5], v[108:109], v[116:117]
	;; [unrolled: 1-line block ×15, first 2 shown]
	v_mov_b32_e32 v202, v75
	v_accvgpr_read_b32 v49, a69
	v_add_f64 v[4:5], v[168:169], v[4:5]
	v_add_f64 v[48:49], v[48:49], v[4:5]
	v_mul_lo_u16_e32 v4, 17, v202
	v_lshlrev_b32_e32 v4, 4, v4
	v_accvgpr_read_b32 v20, a46
	v_accvgpr_read_b32 v13, a9
	;; [unrolled: 1-line block ×4, first 2 shown]
	ds_write_b128 v4, v[48:51]
	ds_write_b128 v4, v[40:43] offset:16
	ds_write_b128 v4, v[66:69] offset:32
	;; [unrolled: 1-line block ×5, first 2 shown]
	v_accvgpr_read_b32 v217, a21
	ds_write_b128 v4, a[156:159] offset:96
	ds_write_b128 v4, a[138:141] offset:112
	;; [unrolled: 1-line block ×7, first 2 shown]
	v_accvgpr_read_b32 v213, a17
	v_accvgpr_read_b32 v21, a47
	;; [unrolled: 1-line block ×20, first 2 shown]
	ds_write_b128 v4, v[176:179] offset:208
	ds_write_b128 v4, v[172:175] offset:224
	;; [unrolled: 1-line block ×4, first 2 shown]
.LBB0_17:
	s_or_b64 exec, exec, s[30:31]
	s_waitcnt lgkmcnt(0)
	s_barrier
	ds_read_b128 v[0:3], v220
	ds_read_b128 v[40:43], v220 offset:2176
	ds_read_b128 v[48:51], v220 offset:4352
	;; [unrolled: 1-line block ×12, first 2 shown]
	s_waitcnt lgkmcnt(11)
	v_mul_f64 v[4:5], v[212:213], v[40:41]
	v_fma_f64 v[132:133], v[210:211], v[42:43], -v[4:5]
	s_waitcnt lgkmcnt(10)
	v_mul_f64 v[4:5], v[16:17], v[48:49]
	v_mul_f64 v[72:73], v[212:213], v[42:43]
	;; [unrolled: 1-line block ×3, first 2 shown]
	v_fma_f64 v[136:137], v[14:15], v[50:51], -v[4:5]
	s_waitcnt lgkmcnt(9)
	v_mul_f64 v[4:5], v[12:13], v[60:61]
	v_fmac_f64_e32 v[72:73], v[210:211], v[40:41]
	v_fmac_f64_e32 v[134:135], v[14:15], v[48:49]
	v_mul_f64 v[48:49], v[12:13], v[62:63]
	v_fma_f64 v[50:51], v[10:11], v[62:63], -v[4:5]
	s_waitcnt lgkmcnt(8)
	v_mul_f64 v[40:41], v[8:9], v[66:67]
	v_mul_f64 v[4:5], v[8:9], v[64:65]
	s_waitcnt lgkmcnt(5)
	v_mul_f64 v[12:13], v[26:27], v[110:111]
	v_mul_f64 v[8:9], v[26:27], v[108:109]
	v_fmac_f64_e32 v[12:13], v[24:25], v[108:109]
	v_fma_f64 v[14:15], v[24:25], v[110:111], -v[8:9]
	s_waitcnt lgkmcnt(4)
	v_mul_f64 v[24:25], v[22:23], v[114:115]
	v_mul_f64 v[8:9], v[22:23], v[112:113]
	v_fmac_f64_e32 v[24:25], v[20:21], v[112:113]
	v_fma_f64 v[20:21], v[20:21], v[114:115], -v[8:9]
	s_waitcnt lgkmcnt(3)
	v_mul_f64 v[8:9], v[58:59], v[116:117]
	v_fma_f64 v[42:43], v[6:7], v[66:67], -v[4:5]
	v_mul_f64 v[16:17], v[34:35], v[70:71]
	v_mul_f64 v[4:5], v[34:35], v[68:69]
	v_fma_f64 v[26:27], v[56:57], v[118:119], -v[8:9]
	s_waitcnt lgkmcnt(2)
	v_mul_f64 v[8:9], v[54:55], v[120:121]
	v_fmac_f64_e32 v[48:49], v[10:11], v[60:61]
	v_fmac_f64_e32 v[40:41], v[6:7], v[64:65]
	v_fmac_f64_e32 v[16:17], v[32:33], v[68:69]
	v_fma_f64 v[18:19], v[32:33], v[70:71], -v[4:5]
	v_mul_f64 v[4:5], v[30:31], v[78:79]
	v_mul_f64 v[6:7], v[30:31], v[76:77]
	v_fma_f64 v[30:31], v[52:53], v[122:123], -v[8:9]
	s_waitcnt lgkmcnt(1)
	v_mul_f64 v[32:33], v[46:47], v[126:127]
	v_mul_f64 v[8:9], v[46:47], v[124:125]
	v_add_f64 v[10:11], v[2:3], v[132:133]
	v_fmac_f64_e32 v[32:33], v[44:45], v[124:125]
	v_fma_f64 v[34:35], v[44:45], v[126:127], -v[8:9]
	s_waitcnt lgkmcnt(0)
	v_mul_f64 v[44:45], v[38:39], v[130:131]
	v_mul_f64 v[8:9], v[38:39], v[128:129]
	v_add_f64 v[10:11], v[10:11], v[136:137]
	v_fmac_f64_e32 v[44:45], v[36:37], v[128:129]
	v_fma_f64 v[36:37], v[36:37], v[130:131], -v[8:9]
	v_add_f64 v[8:9], v[0:1], v[72:73]
	v_add_f64 v[10:11], v[10:11], v[50:51]
	;; [unrolled: 1-line block ×4, first 2 shown]
	v_fma_f64 v[6:7], v[28:29], v[78:79], -v[6:7]
	v_add_f64 v[8:9], v[8:9], v[48:49]
	v_add_f64 v[10:11], v[10:11], v[18:19]
	;; [unrolled: 1-line block ×4, first 2 shown]
	v_fmac_f64_e32 v[4:5], v[28:29], v[76:77]
	v_add_f64 v[8:9], v[8:9], v[16:17]
	v_add_f64 v[10:11], v[10:11], v[14:15]
	;; [unrolled: 1-line block ×4, first 2 shown]
	v_mul_f64 v[22:23], v[58:59], v[118:119]
	v_add_f64 v[8:9], v[8:9], v[12:13]
	v_add_f64 v[10:11], v[10:11], v[26:27]
	v_fmac_f64_e32 v[22:23], v[56:57], v[116:117]
	v_mul_f64 v[28:29], v[54:55], v[122:123]
	v_add_f64 v[8:9], v[8:9], v[24:25]
	v_add_f64 v[10:11], v[10:11], v[30:31]
	v_fmac_f64_e32 v[28:29], v[52:53], v[120:121]
	v_add_f64 v[8:9], v[8:9], v[22:23]
	v_add_f64 v[10:11], v[10:11], v[34:35]
	s_mov_b32 s22, 0x4267c47c
	s_mov_b32 s16, 0x42a4c3d2
	;; [unrolled: 1-line block ×6, first 2 shown]
	v_add_f64 v[8:9], v[8:9], v[28:29]
	v_add_f64 v[10:11], v[10:11], v[36:37]
	;; [unrolled: 1-line block ×3, first 2 shown]
	v_add_f64 v[36:37], v[132:133], -v[36:37]
	s_mov_b32 s23, 0xbfddbe06
	s_mov_b32 s24, 0xe00740e9
	;; [unrolled: 1-line block ×12, first 2 shown]
	v_add_f64 v[8:9], v[8:9], v[32:33]
	v_add_f64 v[38:39], v[72:73], v[44:45]
	v_mul_f64 v[52:53], v[36:37], s[22:23]
	s_mov_b32 s25, 0x3fec55a7
	v_mul_f64 v[60:61], v[36:37], s[16:17]
	s_mov_b32 s19, 0x3fe22d96
	;; [unrolled: 2-line block ×6, first 2 shown]
	v_add_f64 v[8:9], v[8:9], v[44:45]
	v_add_f64 v[44:45], v[72:73], -v[44:45]
	v_fma_f64 v[54:55], s[24:25], v[38:39], v[52:53]
	v_mul_f64 v[56:57], v[46:47], s[24:25]
	s_mov_b32 s27, 0x3fddbe06
	s_mov_b32 s26, s22
	v_fma_f64 v[52:53], v[38:39], s[24:25], -v[52:53]
	v_fma_f64 v[62:63], s[18:19], v[38:39], v[60:61]
	v_mul_f64 v[64:65], v[46:47], s[18:19]
	s_mov_b32 s21, 0x3fea55e2
	s_mov_b32 s20, s16
	v_fma_f64 v[60:61], v[38:39], s[18:19], -v[60:61]
	;; [unrolled: 5-line block ×6, first 2 shown]
	v_add_f64 v[38:39], v[136:137], v[34:35]
	v_add_f64 v[34:35], v[136:137], -v[34:35]
	v_add_f64 v[54:55], v[0:1], v[54:55]
	v_fma_f64 v[58:59], s[26:27], v[44:45], v[56:57]
	v_add_f64 v[52:53], v[0:1], v[52:53]
	v_fmac_f64_e32 v[56:57], s[22:23], v[44:45]
	v_add_f64 v[62:63], v[0:1], v[62:63]
	v_fma_f64 v[66:67], s[20:21], v[44:45], v[64:65]
	v_add_f64 v[60:61], v[0:1], v[60:61]
	v_fmac_f64_e32 v[64:65], s[16:17], v[44:45]
	v_add_f64 v[70:71], v[0:1], v[70:71]
	v_fma_f64 v[76:77], s[14:15], v[44:45], v[72:73]
	v_add_f64 v[68:69], v[0:1], v[68:69]
	v_fmac_f64_e32 v[72:73], s[2:3], v[44:45]
	v_add_f64 v[108:109], v[0:1], v[108:109]
	v_fma_f64 v[112:113], s[34:35], v[44:45], v[110:111]
	v_add_f64 v[78:79], v[0:1], v[78:79]
	v_fmac_f64_e32 v[110:111], s[28:29], v[44:45]
	v_add_f64 v[116:117], v[0:1], v[116:117]
	v_fma_f64 v[120:121], s[40:41], v[44:45], v[118:119]
	v_add_f64 v[114:115], v[0:1], v[114:115]
	v_fmac_f64_e32 v[118:119], s[36:37], v[44:45]
	v_add_f64 v[122:123], v[0:1], v[122:123]
	v_fma_f64 v[124:125], s[46:47], v[44:45], v[46:47]
	v_add_f64 v[0:1], v[0:1], v[36:37]
	v_fmac_f64_e32 v[46:47], s[42:43], v[44:45]
	v_add_f64 v[36:37], v[134:135], v[32:33]
	v_mul_f64 v[44:45], v[34:35], s[16:17]
	v_add_f64 v[58:59], v[2:3], v[58:59]
	v_add_f64 v[56:57], v[2:3], v[56:57]
	;; [unrolled: 1-line block ×12, first 2 shown]
	v_fma_f64 v[46:47], s[18:19], v[36:37], v[44:45]
	v_add_f64 v[32:33], v[134:135], -v[32:33]
	v_add_f64 v[46:47], v[46:47], v[54:55]
	v_mul_f64 v[54:55], v[38:39], s[18:19]
	v_fma_f64 v[126:127], s[20:21], v[32:33], v[54:55]
	v_fma_f64 v[44:45], v[36:37], s[18:19], -v[44:45]
	v_fmac_f64_e32 v[54:55], s[16:17], v[32:33]
	v_add_f64 v[44:45], v[44:45], v[52:53]
	v_add_f64 v[52:53], v[54:55], v[56:57]
	v_mul_f64 v[54:55], v[34:35], s[28:29]
	v_fma_f64 v[56:57], s[30:31], v[36:37], v[54:55]
	v_add_f64 v[56:57], v[56:57], v[62:63]
	v_mul_f64 v[62:63], v[38:39], s[30:31]
	v_add_f64 v[58:59], v[126:127], v[58:59]
	v_fma_f64 v[126:127], s[34:35], v[32:33], v[62:63]
	v_fma_f64 v[54:55], v[36:37], s[30:31], -v[54:55]
	v_fmac_f64_e32 v[62:63], s[28:29], v[32:33]
	v_add_f64 v[54:55], v[54:55], v[60:61]
	v_add_f64 v[60:61], v[62:63], v[64:65]
	v_mul_f64 v[62:63], v[34:35], s[42:43]
	v_fma_f64 v[64:65], s[44:45], v[36:37], v[62:63]
	v_add_f64 v[64:65], v[64:65], v[70:71]
	v_mul_f64 v[70:71], v[38:39], s[44:45]
	v_add_f64 v[66:67], v[126:127], v[66:67]
	;; [unrolled: 10-line block ×4, first 2 shown]
	v_fma_f64 v[126:127], s[2:3], v[32:33], v[116:117]
	v_fma_f64 v[108:109], v[36:37], s[10:11], -v[108:109]
	v_fmac_f64_e32 v[116:117], s[14:15], v[32:33]
	v_mul_f64 v[34:35], v[34:35], s[26:27]
	v_add_f64 v[108:109], v[108:109], v[114:115]
	v_add_f64 v[114:115], v[116:117], v[118:119]
	v_fma_f64 v[116:117], s[24:25], v[36:37], v[34:35]
	v_fma_f64 v[34:35], v[36:37], s[24:25], -v[34:35]
	v_mul_f64 v[38:39], v[38:39], s[24:25]
	v_add_f64 v[0:1], v[34:35], v[0:1]
	v_add_f64 v[34:35], v[50:51], v[30:31]
	v_add_f64 v[30:31], v[50:51], -v[30:31]
	v_fma_f64 v[118:119], s[22:23], v[32:33], v[38:39]
	v_fmac_f64_e32 v[38:39], s[26:27], v[32:33]
	v_add_f64 v[32:33], v[48:49], v[28:29]
	v_mul_f64 v[36:37], v[30:31], s[2:3]
	v_add_f64 v[2:3], v[38:39], v[2:3]
	v_fma_f64 v[38:39], s[10:11], v[32:33], v[36:37]
	v_add_f64 v[28:29], v[48:49], -v[28:29]
	v_add_f64 v[38:39], v[38:39], v[46:47]
	v_mul_f64 v[46:47], v[34:35], s[10:11]
	v_fma_f64 v[48:49], s[14:15], v[28:29], v[46:47]
	v_fma_f64 v[36:37], v[32:33], s[10:11], -v[36:37]
	v_fmac_f64_e32 v[46:47], s[2:3], v[28:29]
	v_add_f64 v[36:37], v[36:37], v[44:45]
	v_add_f64 v[44:45], v[46:47], v[52:53]
	v_mul_f64 v[46:47], v[30:31], s[42:43]
	v_fma_f64 v[50:51], s[44:45], v[32:33], v[46:47]
	v_fma_f64 v[46:47], v[32:33], s[44:45], -v[46:47]
	v_add_f64 v[46:47], v[46:47], v[54:55]
	v_mul_f64 v[54:55], v[30:31], s[34:35]
	v_add_f64 v[48:49], v[48:49], v[58:59]
	v_mul_f64 v[52:53], v[34:35], s[44:45]
	v_fma_f64 v[58:59], s[30:31], v[32:33], v[54:55]
	v_fma_f64 v[54:55], v[32:33], s[30:31], -v[54:55]
	v_add_f64 v[50:51], v[50:51], v[56:57]
	v_fma_f64 v[56:57], s[46:47], v[28:29], v[52:53]
	v_fmac_f64_e32 v[52:53], s[42:43], v[28:29]
	v_add_f64 v[54:55], v[54:55], v[62:63]
	v_mul_f64 v[62:63], v[30:31], s[26:27]
	v_add_f64 v[56:57], v[56:57], v[66:67]
	v_add_f64 v[52:53], v[52:53], v[60:61]
	v_mul_f64 v[60:61], v[34:35], s[30:31]
	v_fma_f64 v[66:67], s[24:25], v[32:33], v[62:63]
	v_fma_f64 v[62:63], v[32:33], s[24:25], -v[62:63]
	v_add_f64 v[58:59], v[58:59], v[64:65]
	v_fma_f64 v[64:65], s[28:29], v[28:29], v[60:61]
	v_fmac_f64_e32 v[60:61], s[34:35], v[28:29]
	v_add_f64 v[62:63], v[62:63], v[70:71]
	v_mul_f64 v[70:71], v[30:31], s[16:17]
	v_add_f64 v[64:65], v[64:65], v[76:77]
	v_add_f64 v[60:61], v[60:61], v[68:69]
	v_mul_f64 v[68:69], v[34:35], s[24:25]
	v_fma_f64 v[76:77], s[18:19], v[32:33], v[70:71]
	v_fma_f64 v[70:71], v[32:33], s[18:19], -v[70:71]
	v_mul_f64 v[30:31], v[30:31], s[36:37]
	v_add_f64 v[66:67], v[66:67], v[72:73]
	v_fma_f64 v[72:73], s[22:23], v[28:29], v[68:69]
	v_fmac_f64_e32 v[68:69], s[26:27], v[28:29]
	v_add_f64 v[70:71], v[70:71], v[108:109]
	v_fma_f64 v[108:109], s[38:39], v[32:33], v[30:31]
	v_fma_f64 v[30:31], v[32:33], s[38:39], -v[30:31]
	v_add_f64 v[68:69], v[68:69], v[78:79]
	v_mul_f64 v[78:79], v[34:35], s[18:19]
	v_mul_f64 v[34:35], v[34:35], s[38:39]
	v_add_f64 v[0:1], v[30:31], v[0:1]
	v_add_f64 v[30:31], v[42:43], v[26:27]
	v_add_f64 v[26:27], v[42:43], -v[26:27]
	v_add_f64 v[72:73], v[72:73], v[112:113]
	v_add_f64 v[76:77], v[76:77], v[110:111]
	v_fma_f64 v[110:111], s[20:21], v[28:29], v[78:79]
	v_fmac_f64_e32 v[78:79], s[16:17], v[28:29]
	v_fma_f64 v[112:113], s[40:41], v[28:29], v[34:35]
	v_fmac_f64_e32 v[34:35], s[36:37], v[28:29]
	v_add_f64 v[28:29], v[40:41], v[22:23]
	v_mul_f64 v[32:33], v[26:27], s[28:29]
	v_add_f64 v[2:3], v[34:35], v[2:3]
	v_fma_f64 v[34:35], s[30:31], v[28:29], v[32:33]
	v_add_f64 v[22:23], v[40:41], -v[22:23]
	v_add_f64 v[34:35], v[34:35], v[38:39]
	v_mul_f64 v[38:39], v[30:31], s[30:31]
	v_fma_f64 v[40:41], s[34:35], v[22:23], v[38:39]
	v_fma_f64 v[32:33], v[28:29], s[30:31], -v[32:33]
	v_fmac_f64_e32 v[38:39], s[28:29], v[22:23]
	v_add_f64 v[32:33], v[32:33], v[36:37]
	v_add_f64 v[36:37], v[38:39], v[44:45]
	v_mul_f64 v[38:39], v[26:27], s[40:41]
	v_fma_f64 v[42:43], s[38:39], v[28:29], v[38:39]
	v_fma_f64 v[38:39], v[28:29], s[38:39], -v[38:39]
	v_add_f64 v[38:39], v[38:39], v[46:47]
	v_mul_f64 v[46:47], v[26:27], s[26:27]
	v_add_f64 v[42:43], v[42:43], v[50:51]
	v_mul_f64 v[44:45], v[30:31], s[38:39]
	v_fma_f64 v[50:51], s[24:25], v[28:29], v[46:47]
	v_fma_f64 v[46:47], v[28:29], s[24:25], -v[46:47]
	v_add_f64 v[40:41], v[40:41], v[48:49]
	v_fma_f64 v[48:49], s[36:37], v[22:23], v[44:45]
	v_fmac_f64_e32 v[44:45], s[40:41], v[22:23]
	v_add_f64 v[46:47], v[46:47], v[54:55]
	v_mul_f64 v[54:55], v[26:27], s[2:3]
	v_add_f64 v[44:45], v[44:45], v[52:53]
	v_add_f64 v[50:51], v[50:51], v[58:59]
	v_mul_f64 v[52:53], v[30:31], s[24:25]
	v_fma_f64 v[58:59], s[10:11], v[28:29], v[54:55]
	v_fma_f64 v[54:55], v[28:29], s[10:11], -v[54:55]
	v_add_f64 v[48:49], v[48:49], v[56:57]
	v_fma_f64 v[56:57], s[22:23], v[22:23], v[52:53]
	v_fmac_f64_e32 v[52:53], s[26:27], v[22:23]
	v_add_f64 v[54:55], v[54:55], v[62:63]
	v_mul_f64 v[62:63], v[26:27], s[46:47]
	v_add_f64 v[52:53], v[52:53], v[60:61]
	v_add_f64 v[58:59], v[58:59], v[66:67]
	v_mul_f64 v[60:61], v[30:31], s[10:11]
	v_fma_f64 v[66:67], s[44:45], v[28:29], v[62:63]
	v_fma_f64 v[62:63], v[28:29], s[44:45], -v[62:63]
	v_mul_f64 v[26:27], v[26:27], s[20:21]
	v_add_f64 v[56:57], v[56:57], v[64:65]
	v_fma_f64 v[64:65], s[14:15], v[22:23], v[60:61]
	v_fmac_f64_e32 v[60:61], s[2:3], v[22:23]
	v_add_f64 v[62:63], v[62:63], v[70:71]
	v_fma_f64 v[70:71], s[18:19], v[28:29], v[26:27]
	v_fma_f64 v[26:27], v[28:29], s[18:19], -v[26:27]
	v_add_f64 v[60:61], v[60:61], v[68:69]
	v_mul_f64 v[68:69], v[30:31], s[44:45]
	v_mul_f64 v[30:31], v[30:31], s[18:19]
	v_add_f64 v[0:1], v[26:27], v[0:1]
	v_add_f64 v[26:27], v[18:19], v[20:21]
	v_add_f64 v[18:19], v[18:19], -v[20:21]
	v_add_f64 v[64:65], v[64:65], v[72:73]
	v_add_f64 v[66:67], v[66:67], v[76:77]
	v_fma_f64 v[72:73], s[42:43], v[22:23], v[68:69]
	v_fmac_f64_e32 v[68:69], s[46:47], v[22:23]
	v_fma_f64 v[76:77], s[16:17], v[22:23], v[30:31]
	v_fmac_f64_e32 v[30:31], s[20:21], v[22:23]
	v_add_f64 v[22:23], v[16:17], v[24:25]
	v_mul_f64 v[20:21], v[18:19], s[36:37]
	v_add_f64 v[16:17], v[16:17], -v[24:25]
	v_fma_f64 v[24:25], s[38:39], v[22:23], v[20:21]
	v_mul_f64 v[28:29], v[26:27], s[38:39]
	v_fma_f64 v[20:21], v[22:23], s[38:39], -v[20:21]
	v_add_f64 v[2:3], v[30:31], v[2:3]
	v_fma_f64 v[30:31], s[40:41], v[16:17], v[28:29]
	v_add_f64 v[20:21], v[20:21], v[32:33]
	v_fmac_f64_e32 v[28:29], s[36:37], v[16:17]
	v_mul_f64 v[32:33], v[18:19], s[14:15]
	v_add_f64 v[24:25], v[24:25], v[34:35]
	v_add_f64 v[28:29], v[28:29], v[36:37]
	v_fma_f64 v[34:35], s[10:11], v[22:23], v[32:33]
	v_mul_f64 v[36:37], v[26:27], s[10:11]
	v_fma_f64 v[32:33], v[22:23], s[10:11], -v[32:33]
	v_add_f64 v[30:31], v[30:31], v[40:41]
	v_fma_f64 v[40:41], s[2:3], v[16:17], v[36:37]
	v_add_f64 v[32:33], v[32:33], v[38:39]
	v_fmac_f64_e32 v[36:37], s[14:15], v[16:17]
	v_mul_f64 v[38:39], v[18:19], s[16:17]
	v_add_f64 v[34:35], v[34:35], v[42:43]
	v_add_f64 v[36:37], v[36:37], v[44:45]
	;; [unrolled: 10-line block ×3, first 2 shown]
	v_fma_f64 v[50:51], s[44:45], v[22:23], v[46:47]
	v_mul_f64 v[52:53], v[26:27], s[44:45]
	v_fma_f64 v[46:47], v[22:23], s[44:45], -v[46:47]
	v_add_f64 v[120:121], v[126:127], v[120:121]
	v_add_f64 v[116:117], v[116:117], v[122:123]
	;; [unrolled: 1-line block ×3, first 2 shown]
	v_fma_f64 v[56:57], s[42:43], v[16:17], v[52:53]
	v_add_f64 v[46:47], v[46:47], v[54:55]
	v_fmac_f64_e32 v[52:53], s[46:47], v[16:17]
	v_mul_f64 v[54:55], v[18:19], s[26:27]
	v_add_f64 v[118:119], v[118:119], v[124:125]
	v_add_f64 v[110:111], v[110:111], v[120:121]
	;; [unrolled: 1-line block ×6, first 2 shown]
	v_fma_f64 v[58:59], s[24:25], v[22:23], v[54:55]
	v_mul_f64 v[60:61], v[26:27], s[24:25]
	v_fma_f64 v[54:55], v[22:23], s[24:25], -v[54:55]
	v_mul_f64 v[18:19], v[18:19], s[28:29]
	v_add_f64 v[112:113], v[112:113], v[118:119]
	v_add_f64 v[72:73], v[72:73], v[110:111]
	;; [unrolled: 1-line block ×5, first 2 shown]
	v_fma_f64 v[64:65], s[22:23], v[16:17], v[60:61]
	v_add_f64 v[54:55], v[54:55], v[62:63]
	v_fmac_f64_e32 v[60:61], s[26:27], v[16:17]
	v_fma_f64 v[62:63], s[30:31], v[22:23], v[18:19]
	v_mul_f64 v[26:27], v[26:27], s[30:31]
	v_fma_f64 v[18:19], v[22:23], s[30:31], -v[18:19]
	v_add_f64 v[108:109], v[6:7], -v[14:15]
	v_add_f64 v[76:77], v[76:77], v[112:113]
	v_add_f64 v[58:59], v[58:59], v[66:67]
	;; [unrolled: 1-line block ×4, first 2 shown]
	v_fma_f64 v[66:67], s[34:35], v[16:17], v[26:27]
	v_add_f64 v[68:69], v[18:19], v[0:1]
	v_fmac_f64_e32 v[26:27], s[28:29], v[16:17]
	v_add_f64 v[72:73], v[4:5], v[12:13]
	v_mul_f64 v[0:1], v[108:109], s[42:43]
	v_add_f64 v[62:63], v[62:63], v[70:71]
	v_add_f64 v[66:67], v[66:67], v[76:77]
	;; [unrolled: 1-line block ×4, first 2 shown]
	v_fma_f64 v[2:3], s[44:45], v[72:73], v[0:1]
	v_add_f64 v[78:79], v[4:5], -v[12:13]
	v_add_f64 v[24:25], v[2:3], v[24:25]
	v_mul_f64 v[2:3], v[76:77], s[44:45]
	v_fma_f64 v[4:5], s[46:47], v[78:79], v[2:3]
	v_add_f64 v[26:27], v[4:5], v[30:31]
	v_mul_f64 v[4:5], v[108:109], s[26:27]
	v_fmac_f64_e32 v[2:3], s[42:43], v[78:79]
	v_fma_f64 v[6:7], s[24:25], v[72:73], v[4:5]
	v_add_f64 v[2:3], v[2:3], v[28:29]
	v_add_f64 v[28:29], v[6:7], v[34:35]
	v_mul_f64 v[6:7], v[76:77], s[24:25]
	v_fma_f64 v[4:5], v[72:73], s[24:25], -v[4:5]
	v_fma_f64 v[12:13], s[22:23], v[78:79], v[6:7]
	v_add_f64 v[16:17], v[4:5], v[32:33]
	v_fmac_f64_e32 v[6:7], s[26:27], v[78:79]
	v_mul_f64 v[4:5], v[108:109], s[36:37]
	v_add_f64 v[18:19], v[6:7], v[36:37]
	v_fma_f64 v[6:7], s[38:39], v[72:73], v[4:5]
	v_add_f64 v[32:33], v[6:7], v[42:43]
	v_mul_f64 v[6:7], v[76:77], s[38:39]
	v_add_f64 v[30:31], v[12:13], v[40:41]
	v_fma_f64 v[12:13], s[40:41], v[78:79], v[6:7]
	v_fma_f64 v[4:5], v[72:73], s[38:39], -v[4:5]
	v_add_f64 v[34:35], v[12:13], v[48:49]
	v_add_f64 v[12:13], v[4:5], v[38:39]
	v_fmac_f64_e32 v[6:7], s[36:37], v[78:79]
	v_mul_f64 v[4:5], v[108:109], s[20:21]
	v_add_f64 v[14:15], v[6:7], v[44:45]
	v_fma_f64 v[6:7], s[18:19], v[72:73], v[4:5]
	v_fma_f64 v[0:1], v[72:73], s[44:45], -v[0:1]
	v_add_f64 v[36:37], v[6:7], v[50:51]
	v_mul_f64 v[6:7], v[76:77], s[18:19]
	v_add_f64 v[0:1], v[0:1], v[20:21]
	v_fma_f64 v[20:21], s[16:17], v[78:79], v[6:7]
	v_fma_f64 v[4:5], v[72:73], s[18:19], -v[4:5]
	v_add_f64 v[38:39], v[20:21], v[56:57]
	v_add_f64 v[20:21], v[4:5], v[46:47]
	v_fmac_f64_e32 v[6:7], s[20:21], v[78:79]
	v_mul_f64 v[4:5], v[108:109], s[28:29]
	v_add_f64 v[22:23], v[6:7], v[52:53]
	v_fma_f64 v[6:7], s[30:31], v[72:73], v[4:5]
	v_mul_f64 v[48:49], v[108:109], s[14:15]
	v_mul_f64 v[50:51], v[76:77], s[10:11]
	v_add_f64 v[40:41], v[6:7], v[58:59]
	v_mul_f64 v[6:7], v[76:77], s[30:31]
	v_fma_f64 v[44:45], s[10:11], v[72:73], v[48:49]
	v_fma_f64 v[46:47], s[2:3], v[78:79], v[50:51]
	;; [unrolled: 1-line block ×3, first 2 shown]
	v_fma_f64 v[4:5], v[72:73], s[30:31], -v[4:5]
	v_fmac_f64_e32 v[6:7], s[28:29], v[78:79]
	v_add_f64 v[44:45], v[44:45], v[62:63]
	v_add_f64 v[46:47], v[46:47], v[66:67]
	v_fma_f64 v[48:49], v[72:73], s[10:11], -v[48:49]
	v_fmac_f64_e32 v[50:51], s[14:15], v[78:79]
	v_add_f64 v[42:43], v[42:43], v[64:65]
	v_add_f64 v[4:5], v[4:5], v[54:55]
	;; [unrolled: 1-line block ×5, first 2 shown]
	s_barrier
	ds_write_b128 v74, v[8:11]
	ds_write_b128 v74, v[24:27] offset:272
	ds_write_b128 v74, v[28:31] offset:544
	ds_write_b128 v74, v[32:35] offset:816
	ds_write_b128 v74, v[36:39] offset:1088
	ds_write_b128 v74, v[40:43] offset:1360
	ds_write_b128 v74, v[44:47] offset:1632
	ds_write_b128 v74, v[48:51] offset:1904
	ds_write_b128 v74, v[4:7] offset:2176
	ds_write_b128 v74, v[20:23] offset:2448
	ds_write_b128 v74, v[12:15] offset:2720
	ds_write_b128 v74, v[16:19] offset:2992
	ds_write_b128 v74, v[0:3] offset:3264
	s_waitcnt lgkmcnt(0)
	s_barrier
	ds_read_b128 v[8:11], v220
	ds_read_b128 v[56:59], v220 offset:3536
	ds_read_b128 v[52:55], v220 offset:7072
	;; [unrolled: 1-line block ×7, first 2 shown]
	s_and_saveexec_b64 s[2:3], s[0:1]
	s_cbranch_execz .LBB0_19
; %bb.18:
	ds_read_b128 v[4:7], v220 offset:2176
	ds_read_b128 v[20:23], v220 offset:5712
	;; [unrolled: 1-line block ×8, first 2 shown]
.LBB0_19:
	s_or_b64 exec, exec, s[2:3]
	s_waitcnt lgkmcnt(5)
	v_mul_f64 v[48:49], v[90:91], v[54:55]
	v_fmac_f64_e32 v[48:49], v[88:89], v[52:53]
	v_mul_f64 v[50:51], v[90:91], v[52:53]
	s_waitcnt lgkmcnt(4)
	v_mul_f64 v[52:53], v[86:87], v[46:47]
	v_fmac_f64_e32 v[52:53], v[84:85], v[44:45]
	v_mul_f64 v[44:45], v[86:87], v[44:45]
	v_fma_f64 v[44:45], v[84:85], v[46:47], -v[44:45]
	s_waitcnt lgkmcnt(3)
	v_mul_f64 v[46:47], v[82:83], v[38:39]
	v_fmac_f64_e32 v[46:47], v[80:81], v[36:37]
	v_mul_f64 v[36:37], v[82:83], v[36:37]
	v_fma_f64 v[36:37], v[80:81], v[38:39], -v[36:37]
	;; [unrolled: 5-line block ×4, first 2 shown]
	s_waitcnt lgkmcnt(0)
	v_mul_f64 v[30:31], v[98:99], v[26:27]
	v_mul_f64 v[40:41], v[94:95], v[58:59]
	;; [unrolled: 1-line block ×3, first 2 shown]
	v_fmac_f64_e32 v[30:31], v[96:97], v[24:25]
	v_mul_f64 v[24:25], v[98:99], v[24:25]
	v_fmac_f64_e32 v[40:41], v[92:93], v[56:57]
	v_fma_f64 v[42:43], v[92:93], v[58:59], -v[42:43]
	v_fma_f64 v[50:51], v[88:89], v[54:55], -v[50:51]
	;; [unrolled: 1-line block ×3, first 2 shown]
	v_add_f64 v[26:27], v[8:9], -v[46:47]
	v_add_f64 v[36:37], v[10:11], -v[36:37]
	;; [unrolled: 1-line block ×8, first 2 shown]
	v_add_f64 v[56:57], v[26:27], v[28:29]
	v_add_f64 v[58:59], v[36:37], -v[34:35]
	v_add_f64 v[60:61], v[38:39], v[24:25]
	v_add_f64 v[62:63], v[32:33], -v[30:31]
	s_mov_b32 s2, 0x667f3bcd
	v_fma_f64 v[10:11], v[10:11], 2.0, -v[36:37]
	v_fma_f64 v[46:47], v[48:49], 2.0, -v[34:35]
	;; [unrolled: 1-line block ×8, first 2 shown]
	s_mov_b32 s3, 0xbfe6a09e
	v_fma_f64 v[8:9], v[8:9], 2.0, -v[26:27]
	v_fma_f64 v[48:49], v[50:51], 2.0, -v[28:29]
	;; [unrolled: 1-line block ×4, first 2 shown]
	v_fma_f64 v[28:29], s[2:3], v[38:39], v[34:35]
	v_fma_f64 v[30:31], s[2:3], v[32:33], v[36:37]
	s_mov_b32 s11, 0x3fe6a09e
	s_mov_b32 s10, s2
	v_add_f64 v[46:47], v[8:9], -v[46:47]
	v_add_f64 v[48:49], v[10:11], -v[48:49]
	;; [unrolled: 1-line block ×4, first 2 shown]
	v_fmac_f64_e32 v[28:29], s[10:11], v[32:33]
	v_fmac_f64_e32 v[30:31], s[2:3], v[38:39]
	v_fma_f64 v[52:53], v[8:9], 2.0, -v[46:47]
	v_fma_f64 v[54:55], v[10:11], 2.0, -v[48:49]
	;; [unrolled: 1-line block ×6, first 2 shown]
	v_add_f64 v[36:37], v[46:47], v[44:45]
	v_add_f64 v[8:9], v[52:53], -v[8:9]
	v_add_f64 v[10:11], v[54:55], -v[10:11]
	v_fma_f64 v[40:41], v[46:47], 2.0, -v[36:37]
	v_fma_f64 v[44:45], s[10:11], v[60:61], v[56:57]
	v_fma_f64 v[46:47], s[10:11], v[62:63], v[58:59]
	v_fma_f64 v[24:25], v[52:53], 2.0, -v[8:9]
	v_fma_f64 v[26:27], v[54:55], 2.0, -v[10:11]
	v_add_f64 v[38:39], v[48:49], -v[50:51]
	v_fmac_f64_e32 v[44:45], s[10:11], v[62:63]
	v_fmac_f64_e32 v[46:47], s[2:3], v[60:61]
	v_fma_f64 v[42:43], v[48:49], 2.0, -v[38:39]
	v_fma_f64 v[48:49], v[56:57], 2.0, -v[44:45]
	;; [unrolled: 1-line block ×3, first 2 shown]
	ds_write_b128 v220, v[24:27]
	ds_write_b128 v220, v[32:35] offset:3536
	ds_write_b128 v220, v[40:43] offset:7072
	;; [unrolled: 1-line block ×7, first 2 shown]
	s_and_saveexec_b64 s[14:15], s[0:1]
	s_cbranch_execz .LBB0_21
; %bb.20:
	v_mul_f64 v[8:9], v[216:217], v[0:1]
	v_accvgpr_read_b32 v51, a25
	v_accvgpr_read_b32 v59, a37
	v_fma_f64 v[8:9], v[214:215], v[2:3], -v[8:9]
	v_accvgpr_read_b32 v50, a24
	v_accvgpr_read_b32 v58, a36
	v_add_f64 v[24:25], v[6:7], -v[8:9]
	v_accvgpr_read_b32 v49, a23
	v_accvgpr_read_b32 v48, a22
	v_mul_f64 v[26:27], v[50:51], v[14:15]
	v_accvgpr_read_b32 v57, a35
	v_accvgpr_read_b32 v56, a34
	v_mul_f64 v[8:9], v[58:59], v[174:175]
	v_accvgpr_read_b32 v47, a29
	v_fmac_f64_e32 v[26:27], v[48:49], v[12:13]
	v_fmac_f64_e32 v[8:9], v[56:57], v[172:173]
	v_accvgpr_read_b32 v46, a28
	v_accvgpr_read_b32 v63, a41
	v_add_f64 v[28:29], v[26:27], -v[8:9]
	v_accvgpr_read_b32 v45, a27
	v_accvgpr_read_b32 v44, a26
	v_mul_f64 v[8:9], v[46:47], v[20:21]
	v_accvgpr_read_b32 v62, a40
	v_fma_f64 v[32:33], v[44:45], v[22:23], -v[8:9]
	v_accvgpr_read_b32 v61, a39
	v_accvgpr_read_b32 v60, a38
	v_mul_f64 v[8:9], v[62:63], v[176:177]
	v_accvgpr_read_b32 v55, a33
	v_accvgpr_read_b32 v67, a45
	v_fma_f64 v[8:9], v[60:61], v[178:179], -v[8:9]
	v_accvgpr_read_b32 v54, a32
	v_accvgpr_read_b32 v66, a44
	v_add_f64 v[34:35], v[32:33], -v[8:9]
	v_accvgpr_read_b32 v53, a31
	v_accvgpr_read_b32 v52, a30
	v_mul_f64 v[36:37], v[54:55], v[18:19]
	v_accvgpr_read_b32 v65, a43
	v_accvgpr_read_b32 v64, a42
	v_mul_f64 v[8:9], v[66:67], v[182:183]
	v_fmac_f64_e32 v[36:37], v[52:53], v[16:17]
	v_fmac_f64_e32 v[8:9], v[64:65], v[180:181]
	v_add_f64 v[38:39], v[36:37], -v[8:9]
	v_mul_f64 v[8:9], v[54:55], v[16:17]
	v_fma_f64 v[18:19], v[52:53], v[18:19], -v[8:9]
	v_mul_f64 v[8:9], v[66:67], v[180:181]
	v_fma_f64 v[8:9], v[64:65], v[182:183], -v[8:9]
	v_add_f64 v[42:43], v[18:19], -v[8:9]
	v_mul_f64 v[22:23], v[46:47], v[22:23]
	v_mul_f64 v[8:9], v[62:63], v[178:179]
	v_fmac_f64_e32 v[22:23], v[44:45], v[20:21]
	v_fmac_f64_e32 v[8:9], v[60:61], v[176:177]
	v_add_f64 v[44:45], v[22:23], -v[8:9]
	v_mul_f64 v[8:9], v[50:51], v[12:13]
	v_fma_f64 v[12:13], v[48:49], v[14:15], -v[8:9]
	v_mul_f64 v[8:9], v[58:59], v[172:173]
	v_fma_f64 v[8:9], v[56:57], v[174:175], -v[8:9]
	v_add_f64 v[20:21], v[12:13], -v[8:9]
	v_mul_f64 v[2:3], v[216:217], v[2:3]
	v_fmac_f64_e32 v[2:3], v[214:215], v[0:1]
	v_fma_f64 v[52:53], v[6:7], 2.0, -v[24:25]
	v_fma_f64 v[0:1], v[12:13], 2.0, -v[20:21]
	v_add_f64 v[48:49], v[4:5], -v[2:3]
	v_add_f64 v[12:13], v[52:53], -v[0:1]
	v_fma_f64 v[54:55], v[22:23], 2.0, -v[44:45]
	v_fma_f64 v[0:1], v[36:37], 2.0, -v[38:39]
	v_add_f64 v[40:41], v[34:35], -v[38:39]
	v_add_f64 v[36:37], v[54:55], -v[0:1]
	;; [unrolled: 4-line block ×3, first 2 shown]
	v_fma_f64 v[28:29], v[32:33], 2.0, -v[34:35]
	v_fma_f64 v[0:1], v[18:19], 2.0, -v[42:43]
	v_fma_f64 v[10:11], s[10:11], v[40:41], v[30:31]
	v_add_f64 v[46:47], v[42:43], v[44:45]
	v_add_f64 v[2:3], v[12:13], -v[36:37]
	v_add_f64 v[32:33], v[28:29], -v[0:1]
	v_fmac_f64_e32 v[10:11], s[2:3], v[46:47]
	v_fma_f64 v[6:7], v[12:13], 2.0, -v[2:3]
	v_fma_f64 v[18:19], v[24:25], 2.0, -v[30:31]
	;; [unrolled: 1-line block ×6, first 2 shown]
	v_add_f64 v[50:51], v[20:21], v[48:49]
	v_add_f64 v[0:1], v[26:27], v[32:33]
	v_fma_f64 v[20:21], s[2:3], v[22:23], v[18:19]
	v_fma_f64 v[30:31], v[44:45], 2.0, -v[46:47]
	v_add_f64 v[28:29], v[12:13], -v[28:29]
	v_fma_f64 v[4:5], v[26:27], 2.0, -v[0:1]
	v_fmac_f64_e32 v[20:21], s[2:3], v[30:31]
	v_fma_f64 v[34:35], v[48:49], 2.0, -v[50:51]
	v_fma_f64 v[32:33], v[12:13], 2.0, -v[28:29]
	;; [unrolled: 1-line block ×4, first 2 shown]
	v_fma_f64 v[8:9], s[10:11], v[46:47], v[50:51]
	v_fma_f64 v[24:25], v[18:19], 2.0, -v[20:21]
	v_fma_f64 v[18:19], s[2:3], v[30:31], v[34:35]
	v_add_f64 v[26:27], v[12:13], -v[26:27]
	v_fmac_f64_e32 v[8:9], s[10:11], v[40:41]
	v_fmac_f64_e32 v[18:19], s[10:11], v[22:23]
	v_fma_f64 v[30:31], v[12:13], 2.0, -v[26:27]
	v_fma_f64 v[14:15], v[50:51], 2.0, -v[8:9]
	;; [unrolled: 1-line block ×3, first 2 shown]
	ds_write_b128 v220, v[30:33] offset:2176
	ds_write_b128 v220, v[22:25] offset:5712
	ds_write_b128 v220, v[4:7] offset:9248
	ds_write_b128 v220, v[14:17] offset:12784
	ds_write_b128 v220, v[26:29] offset:16320
	ds_write_b128 v220, v[18:21] offset:19856
	ds_write_b128 v220, v[0:3] offset:23392
	ds_write_b128 v220, v[8:11] offset:26928
.LBB0_21:
	s_or_b64 exec, exec, s[14:15]
	s_waitcnt lgkmcnt(0)
	s_barrier
	s_and_b64 exec, exec, vcc
	s_cbranch_execz .LBB0_23
; %bb.22:
	global_load_dwordx4 v[0:3], v220, s[8:9]
	v_mad_u64_u32 v[14:15], s[0:1], s6, v204, 0
	v_mad_u64_u32 v[16:17], s[2:3], s4, v202, 0
	v_mov_b32_e32 v22, v15
	ds_read_b128 v[4:7], v220
	ds_read_b128 v[8:11], v220 offset:1664
	ds_read_b128 v[18:21], v220 offset:26624
	v_mov_b32_e32 v24, v17
	v_mad_u64_u32 v[22:23], s[2:3], s7, v204, v[22:23]
	v_mov_b32_e32 v12, s12
	v_mov_b32_e32 v13, s13
	v_mad_u64_u32 v[24:25], s[2:3], s5, v202, v[24:25]
	v_mov_b32_e32 v15, v22
	v_mov_b32_e32 v17, v24
	v_lshl_add_u64 v[12:13], v[14:15], 4, v[12:13]
	s_mov_b32 s0, 0x1288b013
	v_lshl_add_u64 v[14:15], v[16:17], 4, v[12:13]
	s_mov_b32 s1, 0x3f4288b0
	v_mov_b32_e32 v26, 0x680
	s_mul_i32 s6, s5, 0x680
	v_mov_b32_e32 v221, 0
	s_waitcnt vmcnt(0) lgkmcnt(2)
	v_mul_f64 v[16:17], v[6:7], v[2:3]
	v_mul_f64 v[2:3], v[4:5], v[2:3]
	v_fmac_f64_e32 v[16:17], v[4:5], v[0:1]
	v_fma_f64 v[2:3], v[0:1], v[6:7], -v[2:3]
	v_mul_f64 v[0:1], v[16:17], s[0:1]
	v_mul_f64 v[2:3], v[2:3], s[0:1]
	global_store_dwordx4 v[14:15], v[0:3], off
	global_load_dwordx4 v[0:3], v220, s[8:9] offset:1664
	v_mad_u64_u32 v[14:15], s[2:3], s4, v26, v[14:15]
	v_add_u32_e32 v15, s6, v15
	s_movk_i32 s2, 0x1000
	v_lshl_add_u64 v[16:17], s[8:9], 0, v[220:221]
	v_add_co_u32_e32 v22, vcc, s2, v16
	s_waitcnt vmcnt(0) lgkmcnt(1)
	v_mul_f64 v[4:5], v[10:11], v[2:3]
	v_mul_f64 v[2:3], v[8:9], v[2:3]
	v_fmac_f64_e32 v[4:5], v[8:9], v[0:1]
	v_fma_f64 v[2:3], v[0:1], v[10:11], -v[2:3]
	v_mul_f64 v[0:1], v[4:5], s[0:1]
	v_mul_f64 v[2:3], v[2:3], s[0:1]
	global_store_dwordx4 v[14:15], v[0:3], off
	global_load_dwordx4 v[0:3], v220, s[8:9] offset:3328
	ds_read_b128 v[4:7], v220 offset:3328
	ds_read_b128 v[8:11], v220 offset:4992
	v_mad_u64_u32 v[14:15], s[2:3], s4, v26, v[14:15]
	v_add_u32_e32 v15, s6, v15
	v_addc_co_u32_e32 v23, vcc, 0, v17, vcc
	s_waitcnt vmcnt(0) lgkmcnt(1)
	v_mul_f64 v[24:25], v[6:7], v[2:3]
	v_mul_f64 v[2:3], v[4:5], v[2:3]
	v_fmac_f64_e32 v[24:25], v[4:5], v[0:1]
	v_fma_f64 v[2:3], v[0:1], v[6:7], -v[2:3]
	v_mul_f64 v[0:1], v[24:25], s[0:1]
	v_mul_f64 v[2:3], v[2:3], s[0:1]
	global_store_dwordx4 v[14:15], v[0:3], off
	global_load_dwordx4 v[0:3], v[22:23], off offset:896
	v_mad_u64_u32 v[14:15], s[2:3], s4, v26, v[14:15]
	v_add_u32_e32 v15, s6, v15
	s_movk_i32 s2, 0x2000
	s_waitcnt vmcnt(0) lgkmcnt(0)
	v_mul_f64 v[4:5], v[10:11], v[2:3]
	v_mul_f64 v[2:3], v[8:9], v[2:3]
	v_fmac_f64_e32 v[4:5], v[8:9], v[0:1]
	v_fma_f64 v[2:3], v[0:1], v[10:11], -v[2:3]
	v_mul_f64 v[0:1], v[4:5], s[0:1]
	v_mul_f64 v[2:3], v[2:3], s[0:1]
	global_store_dwordx4 v[14:15], v[0:3], off
	global_load_dwordx4 v[0:3], v[22:23], off offset:2560
	ds_read_b128 v[4:7], v220 offset:6656
	ds_read_b128 v[8:11], v220 offset:8320
	v_add_co_u32_e32 v22, vcc, s2, v16
	v_mad_u64_u32 v[14:15], s[2:3], s4, v26, v[14:15]
	v_add_u32_e32 v15, s6, v15
	v_addc_co_u32_e32 v23, vcc, 0, v17, vcc
	s_waitcnt vmcnt(0) lgkmcnt(1)
	v_mul_f64 v[24:25], v[6:7], v[2:3]
	v_mul_f64 v[2:3], v[4:5], v[2:3]
	v_fmac_f64_e32 v[24:25], v[4:5], v[0:1]
	v_fma_f64 v[2:3], v[0:1], v[6:7], -v[2:3]
	v_mul_f64 v[0:1], v[24:25], s[0:1]
	v_mul_f64 v[2:3], v[2:3], s[0:1]
	global_store_dwordx4 v[14:15], v[0:3], off
	global_load_dwordx4 v[0:3], v[22:23], off offset:128
	v_mad_u64_u32 v[14:15], s[2:3], s4, v26, v[14:15]
	v_add_u32_e32 v15, s6, v15
	s_waitcnt vmcnt(0) lgkmcnt(0)
	v_mul_f64 v[4:5], v[10:11], v[2:3]
	v_mul_f64 v[2:3], v[8:9], v[2:3]
	v_fmac_f64_e32 v[4:5], v[8:9], v[0:1]
	v_fma_f64 v[2:3], v[0:1], v[10:11], -v[2:3]
	v_mul_f64 v[0:1], v[4:5], s[0:1]
	v_mul_f64 v[2:3], v[2:3], s[0:1]
	global_store_dwordx4 v[14:15], v[0:3], off
	global_load_dwordx4 v[0:3], v[22:23], off offset:1792
	ds_read_b128 v[4:7], v220 offset:9984
	ds_read_b128 v[8:11], v220 offset:11648
	v_mad_u64_u32 v[14:15], s[2:3], s4, v26, v[14:15]
	v_add_u32_e32 v15, s6, v15
	s_movk_i32 s2, 0x3000
	s_waitcnt vmcnt(0) lgkmcnt(1)
	v_mul_f64 v[24:25], v[6:7], v[2:3]
	v_mul_f64 v[2:3], v[4:5], v[2:3]
	v_fmac_f64_e32 v[24:25], v[4:5], v[0:1]
	v_fma_f64 v[2:3], v[0:1], v[6:7], -v[2:3]
	v_mul_f64 v[0:1], v[24:25], s[0:1]
	v_mul_f64 v[2:3], v[2:3], s[0:1]
	global_store_dwordx4 v[14:15], v[0:3], off
	global_load_dwordx4 v[0:3], v[22:23], off offset:3456
	v_add_co_u32_e32 v22, vcc, s2, v16
	v_mad_u64_u32 v[14:15], s[2:3], s4, v26, v[14:15]
	v_add_u32_e32 v15, s6, v15
	v_addc_co_u32_e32 v23, vcc, 0, v17, vcc
	s_waitcnt vmcnt(0) lgkmcnt(0)
	v_mul_f64 v[4:5], v[10:11], v[2:3]
	v_mul_f64 v[2:3], v[8:9], v[2:3]
	v_fmac_f64_e32 v[4:5], v[8:9], v[0:1]
	v_fma_f64 v[2:3], v[0:1], v[10:11], -v[2:3]
	v_mul_f64 v[0:1], v[4:5], s[0:1]
	v_mul_f64 v[2:3], v[2:3], s[0:1]
	global_store_dwordx4 v[14:15], v[0:3], off
	global_load_dwordx4 v[0:3], v[22:23], off offset:1024
	ds_read_b128 v[4:7], v220 offset:13312
	ds_read_b128 v[8:11], v220 offset:14976
	v_mad_u64_u32 v[14:15], s[2:3], s4, v26, v[14:15]
	v_add_u32_e32 v15, s6, v15
	s_movk_i32 s2, 0x4000
	s_waitcnt vmcnt(0) lgkmcnt(1)
	v_mul_f64 v[24:25], v[6:7], v[2:3]
	v_mul_f64 v[2:3], v[4:5], v[2:3]
	v_fmac_f64_e32 v[24:25], v[4:5], v[0:1]
	v_fma_f64 v[2:3], v[0:1], v[6:7], -v[2:3]
	v_mul_f64 v[0:1], v[24:25], s[0:1]
	v_mul_f64 v[2:3], v[2:3], s[0:1]
	global_store_dwordx4 v[14:15], v[0:3], off
	global_load_dwordx4 v[0:3], v[22:23], off offset:2688
	v_add_co_u32_e32 v22, vcc, s2, v16
	v_mad_u64_u32 v[14:15], s[2:3], s4, v26, v[14:15]
	v_add_u32_e32 v15, s6, v15
	v_addc_co_u32_e32 v23, vcc, 0, v17, vcc
	s_waitcnt vmcnt(0) lgkmcnt(0)
	v_mul_f64 v[4:5], v[10:11], v[2:3]
	v_mul_f64 v[2:3], v[8:9], v[2:3]
	v_fmac_f64_e32 v[4:5], v[8:9], v[0:1]
	v_fma_f64 v[2:3], v[0:1], v[10:11], -v[2:3]
	v_mul_f64 v[0:1], v[4:5], s[0:1]
	v_mul_f64 v[2:3], v[2:3], s[0:1]
	global_store_dwordx4 v[14:15], v[0:3], off
	global_load_dwordx4 v[0:3], v[22:23], off offset:256
	ds_read_b128 v[4:7], v220 offset:16640
	ds_read_b128 v[8:11], v220 offset:18304
	v_mad_u64_u32 v[14:15], s[2:3], s4, v26, v[14:15]
	v_add_u32_e32 v15, s6, v15
	s_waitcnt vmcnt(0) lgkmcnt(1)
	v_mul_f64 v[24:25], v[6:7], v[2:3]
	v_mul_f64 v[2:3], v[4:5], v[2:3]
	v_fmac_f64_e32 v[24:25], v[4:5], v[0:1]
	v_fma_f64 v[2:3], v[0:1], v[6:7], -v[2:3]
	v_mul_f64 v[0:1], v[24:25], s[0:1]
	v_mul_f64 v[2:3], v[2:3], s[0:1]
	global_store_dwordx4 v[14:15], v[0:3], off
	global_load_dwordx4 v[0:3], v[22:23], off offset:1920
	v_mad_u64_u32 v[14:15], s[2:3], s4, v26, v[14:15]
	v_add_u32_e32 v15, s6, v15
	s_movk_i32 s2, 0x5000
	s_waitcnt vmcnt(0) lgkmcnt(0)
	v_mul_f64 v[4:5], v[10:11], v[2:3]
	v_mul_f64 v[2:3], v[8:9], v[2:3]
	v_fmac_f64_e32 v[4:5], v[8:9], v[0:1]
	v_fma_f64 v[2:3], v[0:1], v[10:11], -v[2:3]
	v_mul_f64 v[0:1], v[4:5], s[0:1]
	v_mul_f64 v[2:3], v[2:3], s[0:1]
	global_store_dwordx4 v[14:15], v[0:3], off
	global_load_dwordx4 v[0:3], v[22:23], off offset:3584
	ds_read_b128 v[4:7], v220 offset:19968
	ds_read_b128 v[8:11], v220 offset:21632
	v_add_co_u32_e32 v22, vcc, s2, v16
	v_mad_u64_u32 v[14:15], s[2:3], s4, v26, v[14:15]
	v_add_u32_e32 v15, s6, v15
	v_addc_co_u32_e32 v23, vcc, 0, v17, vcc
	s_waitcnt vmcnt(0) lgkmcnt(1)
	v_mul_f64 v[24:25], v[6:7], v[2:3]
	v_mul_f64 v[2:3], v[4:5], v[2:3]
	v_fmac_f64_e32 v[24:25], v[4:5], v[0:1]
	v_fma_f64 v[2:3], v[0:1], v[6:7], -v[2:3]
	v_mul_f64 v[0:1], v[24:25], s[0:1]
	v_mul_f64 v[2:3], v[2:3], s[0:1]
	global_store_dwordx4 v[14:15], v[0:3], off
	global_load_dwordx4 v[0:3], v[22:23], off offset:1152
	v_mad_u64_u32 v[14:15], s[2:3], s4, v26, v[14:15]
	v_add_u32_e32 v15, s6, v15
	s_movk_i32 s2, 0x6000
	v_add_co_u32_e32 v16, vcc, s2, v16
	s_waitcnt vmcnt(0) lgkmcnt(0)
	v_mul_f64 v[4:5], v[10:11], v[2:3]
	v_mul_f64 v[2:3], v[8:9], v[2:3]
	v_fmac_f64_e32 v[4:5], v[8:9], v[0:1]
	v_fma_f64 v[2:3], v[0:1], v[10:11], -v[2:3]
	v_mul_f64 v[0:1], v[4:5], s[0:1]
	v_mul_f64 v[2:3], v[2:3], s[0:1]
	global_store_dwordx4 v[14:15], v[0:3], off
	global_load_dwordx4 v[0:3], v[22:23], off offset:2816
	ds_read_b128 v[4:7], v220 offset:23296
	ds_read_b128 v[8:11], v220 offset:24960
	v_mad_u64_u32 v[14:15], s[2:3], s4, v26, v[14:15]
	v_add_u32_e32 v15, s6, v15
	v_addc_co_u32_e32 v17, vcc, 0, v17, vcc
	s_waitcnt vmcnt(0) lgkmcnt(1)
	v_mul_f64 v[22:23], v[6:7], v[2:3]
	v_mul_f64 v[2:3], v[4:5], v[2:3]
	v_fmac_f64_e32 v[22:23], v[4:5], v[0:1]
	v_fma_f64 v[2:3], v[0:1], v[6:7], -v[2:3]
	v_mul_f64 v[0:1], v[22:23], s[0:1]
	v_mul_f64 v[2:3], v[2:3], s[0:1]
	global_store_dwordx4 v[14:15], v[0:3], off
	global_load_dwordx4 v[0:3], v[16:17], off offset:384
	v_mad_u64_u32 v[4:5], s[2:3], s4, v26, v[14:15]
	v_or_b32_e32 v16, 0x680, v202
	v_add_u32_e32 v5, s6, v5
	v_lshlrev_b32_e32 v17, 4, v16
	s_waitcnt vmcnt(0) lgkmcnt(0)
	v_mul_f64 v[6:7], v[10:11], v[2:3]
	v_mul_f64 v[2:3], v[8:9], v[2:3]
	v_fmac_f64_e32 v[6:7], v[8:9], v[0:1]
	v_fma_f64 v[2:3], v[0:1], v[10:11], -v[2:3]
	v_mul_f64 v[0:1], v[6:7], s[0:1]
	v_mul_f64 v[2:3], v[2:3], s[0:1]
	global_store_dwordx4 v[4:5], v[0:3], off
	global_load_dwordx4 v[0:3], v17, s[8:9]
	v_mad_u64_u32 v[4:5], s[2:3], s4, v16, 0
	v_mov_b32_e32 v6, v5
	v_mad_u64_u32 v[6:7], s[2:3], s5, v16, v[6:7]
	v_mov_b32_e32 v5, v6
	v_lshl_add_u64 v[4:5], v[4:5], 4, v[12:13]
	s_waitcnt vmcnt(0)
	v_mul_f64 v[6:7], v[20:21], v[2:3]
	v_mul_f64 v[2:3], v[18:19], v[2:3]
	v_fmac_f64_e32 v[6:7], v[18:19], v[0:1]
	v_fma_f64 v[2:3], v[0:1], v[20:21], -v[2:3]
	v_mul_f64 v[0:1], v[6:7], s[0:1]
	v_mul_f64 v[2:3], v[2:3], s[0:1]
	global_store_dwordx4 v[4:5], v[0:3], off
.LBB0_23:
	s_endpgm
	.section	.rodata,"a",@progbits
	.p2align	6, 0x0
	.amdhsa_kernel bluestein_single_back_len1768_dim1_dp_op_CI_CI
		.amdhsa_group_segment_fixed_size 28288
		.amdhsa_private_segment_fixed_size 0
		.amdhsa_kernarg_size 104
		.amdhsa_user_sgpr_count 2
		.amdhsa_user_sgpr_dispatch_ptr 0
		.amdhsa_user_sgpr_queue_ptr 0
		.amdhsa_user_sgpr_kernarg_segment_ptr 1
		.amdhsa_user_sgpr_dispatch_id 0
		.amdhsa_user_sgpr_kernarg_preload_length 0
		.amdhsa_user_sgpr_kernarg_preload_offset 0
		.amdhsa_user_sgpr_private_segment_size 0
		.amdhsa_uses_dynamic_stack 0
		.amdhsa_enable_private_segment 0
		.amdhsa_system_sgpr_workgroup_id_x 1
		.amdhsa_system_sgpr_workgroup_id_y 0
		.amdhsa_system_sgpr_workgroup_id_z 0
		.amdhsa_system_sgpr_workgroup_info 0
		.amdhsa_system_vgpr_workitem_id 0
		.amdhsa_next_free_vgpr 420
		.amdhsa_next_free_sgpr 62
		.amdhsa_accum_offset 256
		.amdhsa_reserve_vcc 1
		.amdhsa_float_round_mode_32 0
		.amdhsa_float_round_mode_16_64 0
		.amdhsa_float_denorm_mode_32 3
		.amdhsa_float_denorm_mode_16_64 3
		.amdhsa_dx10_clamp 1
		.amdhsa_ieee_mode 1
		.amdhsa_fp16_overflow 0
		.amdhsa_tg_split 0
		.amdhsa_exception_fp_ieee_invalid_op 0
		.amdhsa_exception_fp_denorm_src 0
		.amdhsa_exception_fp_ieee_div_zero 0
		.amdhsa_exception_fp_ieee_overflow 0
		.amdhsa_exception_fp_ieee_underflow 0
		.amdhsa_exception_fp_ieee_inexact 0
		.amdhsa_exception_int_div_zero 0
	.end_amdhsa_kernel
	.text
.Lfunc_end0:
	.size	bluestein_single_back_len1768_dim1_dp_op_CI_CI, .Lfunc_end0-bluestein_single_back_len1768_dim1_dp_op_CI_CI
                                        ; -- End function
	.section	.AMDGPU.csdata,"",@progbits
; Kernel info:
; codeLenInByte = 32916
; NumSgprs: 68
; NumVgprs: 256
; NumAgprs: 164
; TotalNumVgprs: 420
; ScratchSize: 0
; MemoryBound: 0
; FloatMode: 240
; IeeeMode: 1
; LDSByteSize: 28288 bytes/workgroup (compile time only)
; SGPRBlocks: 8
; VGPRBlocks: 52
; NumSGPRsForWavesPerEU: 68
; NumVGPRsForWavesPerEU: 420
; AccumOffset: 256
; Occupancy: 1
; WaveLimiterHint : 1
; COMPUTE_PGM_RSRC2:SCRATCH_EN: 0
; COMPUTE_PGM_RSRC2:USER_SGPR: 2
; COMPUTE_PGM_RSRC2:TRAP_HANDLER: 0
; COMPUTE_PGM_RSRC2:TGID_X_EN: 1
; COMPUTE_PGM_RSRC2:TGID_Y_EN: 0
; COMPUTE_PGM_RSRC2:TGID_Z_EN: 0
; COMPUTE_PGM_RSRC2:TIDIG_COMP_CNT: 0
; COMPUTE_PGM_RSRC3_GFX90A:ACCUM_OFFSET: 63
; COMPUTE_PGM_RSRC3_GFX90A:TG_SPLIT: 0
	.text
	.p2alignl 6, 3212836864
	.fill 256, 4, 3212836864
	.type	__hip_cuid_bdb0021cc1190f81,@object ; @__hip_cuid_bdb0021cc1190f81
	.section	.bss,"aw",@nobits
	.globl	__hip_cuid_bdb0021cc1190f81
__hip_cuid_bdb0021cc1190f81:
	.byte	0                               ; 0x0
	.size	__hip_cuid_bdb0021cc1190f81, 1

	.ident	"AMD clang version 19.0.0git (https://github.com/RadeonOpenCompute/llvm-project roc-6.4.0 25133 c7fe45cf4b819c5991fe208aaa96edf142730f1d)"
	.section	".note.GNU-stack","",@progbits
	.addrsig
	.addrsig_sym __hip_cuid_bdb0021cc1190f81
	.amdgpu_metadata
---
amdhsa.kernels:
  - .agpr_count:     164
    .args:
      - .actual_access:  read_only
        .address_space:  global
        .offset:         0
        .size:           8
        .value_kind:     global_buffer
      - .actual_access:  read_only
        .address_space:  global
        .offset:         8
        .size:           8
        .value_kind:     global_buffer
      - .actual_access:  read_only
        .address_space:  global
        .offset:         16
        .size:           8
        .value_kind:     global_buffer
      - .actual_access:  read_only
        .address_space:  global
        .offset:         24
        .size:           8
        .value_kind:     global_buffer
      - .actual_access:  read_only
        .address_space:  global
        .offset:         32
        .size:           8
        .value_kind:     global_buffer
      - .offset:         40
        .size:           8
        .value_kind:     by_value
      - .address_space:  global
        .offset:         48
        .size:           8
        .value_kind:     global_buffer
      - .address_space:  global
        .offset:         56
        .size:           8
        .value_kind:     global_buffer
      - .address_space:  global
        .offset:         64
        .size:           8
        .value_kind:     global_buffer
      - .address_space:  global
        .offset:         72
        .size:           8
        .value_kind:     global_buffer
      - .offset:         80
        .size:           4
        .value_kind:     by_value
      - .address_space:  global
        .offset:         88
        .size:           8
        .value_kind:     global_buffer
      - .address_space:  global
        .offset:         96
        .size:           8
        .value_kind:     global_buffer
    .group_segment_fixed_size: 28288
    .kernarg_segment_align: 8
    .kernarg_segment_size: 104
    .language:       OpenCL C
    .language_version:
      - 2
      - 0
    .max_flat_workgroup_size: 136
    .name:           bluestein_single_back_len1768_dim1_dp_op_CI_CI
    .private_segment_fixed_size: 0
    .sgpr_count:     68
    .sgpr_spill_count: 0
    .symbol:         bluestein_single_back_len1768_dim1_dp_op_CI_CI.kd
    .uniform_work_group_size: 1
    .uses_dynamic_stack: false
    .vgpr_count:     420
    .vgpr_spill_count: 0
    .wavefront_size: 64
amdhsa.target:   amdgcn-amd-amdhsa--gfx950
amdhsa.version:
  - 1
  - 2
...

	.end_amdgpu_metadata
